;; amdgpu-corpus repo=ROCm/rocFFT kind=compiled arch=gfx1201 opt=O3
	.text
	.amdgcn_target "amdgcn-amd-amdhsa--gfx1201"
	.amdhsa_code_object_version 6
	.protected	bluestein_single_back_len1280_dim1_half_op_CI_CI ; -- Begin function bluestein_single_back_len1280_dim1_half_op_CI_CI
	.globl	bluestein_single_back_len1280_dim1_half_op_CI_CI
	.p2align	8
	.type	bluestein_single_back_len1280_dim1_half_op_CI_CI,@function
bluestein_single_back_len1280_dim1_half_op_CI_CI: ; @bluestein_single_back_len1280_dim1_half_op_CI_CI
; %bb.0:
	s_load_b128 s[16:19], s[0:1], 0x28
	v_mul_u32_u24_e32 v1, 0x334, v0
	s_mov_b32 s2, exec_lo
	v_mov_b32_e32 v16, 0
	s_delay_alu instid0(VALU_DEP_2) | instskip(NEXT) | instid1(VALU_DEP_1)
	v_lshrrev_b32_e32 v1, 16, v1
	v_add_nc_u32_e32 v15, ttmp9, v1
	s_wait_kmcnt 0x0
	s_delay_alu instid0(VALU_DEP_1)
	v_cmpx_gt_u64_e64 s[16:17], v[15:16]
	s_cbranch_execz .LBB0_10
; %bb.1:
	s_clause 0x1
	s_load_b128 s[4:7], s[0:1], 0x18
	s_load_b128 s[8:11], s[0:1], 0x0
	v_mul_lo_u16 v1, 0x50, v1
	s_delay_alu instid0(VALU_DEP_1)
	v_sub_nc_u16 v1, v0, v1
	s_wait_kmcnt 0x0
	s_load_b128 s[12:15], s[4:5], 0x0
	s_wait_kmcnt 0x0
	v_mad_co_u64_u32 v[2:3], null, s14, v15, 0
	v_and_b32_e32 v59, 0xffff, v1
	s_mul_u64 s[2:3], s[12:13], 0x140
	s_delay_alu instid0(VALU_DEP_2) | instskip(NEXT) | instid1(VALU_DEP_2)
	v_mov_b32_e32 v0, v3
	v_mad_co_u64_u32 v[4:5], null, s12, v59, 0
	v_or_b32_e32 v43, 0x280, v59
	v_lshlrev_b32_e32 v63, 2, v59
	s_delay_alu instid0(VALU_DEP_4)
	v_mad_co_u64_u32 v[8:9], null, s15, v15, v[0:1]
	s_clause 0x7
	global_load_b32 v66, v63, s[8:9]
	global_load_b32 v64, v63, s[8:9] offset:320
	global_load_b32 v61, v63, s[8:9] offset:640
	;; [unrolled: 1-line block ×7, first 2 shown]
	v_mad_co_u64_u32 v[6:7], null, s12, v43, 0
	v_dual_mov_b32 v0, v5 :: v_dual_mov_b32 v3, v8
	s_clause 0x7
	global_load_b32 v48, v63, s[8:9] offset:2560
	global_load_b32 v46, v63, s[8:9] offset:2880
	;; [unrolled: 1-line block ×8, first 2 shown]
	v_add_nc_u32_e32 v27, 0x800, v63
	v_add_nc_u32_e32 v23, 0xe00, v63
	v_mad_co_u64_u32 v[9:10], null, s13, v59, v[0:1]
	v_mov_b32_e32 v5, v7
	v_lshlrev_b64_e32 v[2:3], 2, v[2:3]
	v_add_nc_u32_e32 v22, 0x600, v63
	v_add_nc_u32_e32 v28, 0x1000, v63
	s_delay_alu instid0(VALU_DEP_4) | instskip(SKIP_3) | instid1(VALU_DEP_3)
	v_mad_co_u64_u32 v[7:8], null, s13, v43, v[5:6]
	v_mov_b32_e32 v5, v9
	v_add_co_u32 v0, vcc_lo, s18, v2
	v_add_co_ci_u32_e32 v8, vcc_lo, s19, v3, vcc_lo
	v_lshlrev_b64_e32 v[4:5], 2, v[4:5]
	s_delay_alu instid0(VALU_DEP_1) | instskip(SKIP_1) | instid1(VALU_DEP_2)
	v_add_co_u32 v2, vcc_lo, v0, v4
	s_wait_alu 0xfffd
	v_add_co_ci_u32_e32 v3, vcc_lo, v8, v5, vcc_lo
	v_lshlrev_b64_e32 v[4:5], 2, v[6:7]
	s_delay_alu instid0(VALU_DEP_3) | instskip(SKIP_1) | instid1(VALU_DEP_3)
	v_add_co_u32 v6, vcc_lo, v2, s2
	s_wait_alu 0xfffd
	v_add_co_ci_u32_e32 v7, vcc_lo, s3, v3, vcc_lo
	global_load_b32 v12, v[2:3], off
	v_add_co_u32 v4, vcc_lo, v0, v4
	s_wait_alu 0xfffd
	v_add_co_ci_u32_e32 v5, vcc_lo, v8, v5, vcc_lo
	v_add_co_u32 v8, vcc_lo, v6, s2
	s_wait_alu 0xfffd
	v_add_co_ci_u32_e32 v9, vcc_lo, s3, v7, vcc_lo
	s_clause 0x2
	global_load_b32 v13, v[4:5], off
	global_load_b32 v14, v[6:7], off
	;; [unrolled: 1-line block ×3, first 2 shown]
	v_add_co_u32 v2, vcc_lo, v8, s2
	s_wait_alu 0xfffd
	v_add_co_ci_u32_e32 v3, vcc_lo, s3, v9, vcc_lo
	s_delay_alu instid0(VALU_DEP_2) | instskip(SKIP_1) | instid1(VALU_DEP_2)
	v_add_co_u32 v4, vcc_lo, v2, s2
	s_wait_alu 0xfffd
	v_add_co_ci_u32_e32 v5, vcc_lo, s3, v3, vcc_lo
	global_load_b32 v17, v[2:3], off
	v_add_co_u32 v6, vcc_lo, v4, s2
	global_load_b32 v18, v[4:5], off
	s_wait_alu 0xfffd
	v_add_co_ci_u32_e32 v7, vcc_lo, s3, v5, vcc_lo
	v_add_co_u32 v8, vcc_lo, v6, s2
	s_wait_alu 0xfffd
	s_delay_alu instid0(VALU_DEP_2) | instskip(NEXT) | instid1(VALU_DEP_2)
	v_add_co_ci_u32_e32 v9, vcc_lo, s3, v7, vcc_lo
	v_add_co_u32 v10, vcc_lo, v8, s2
	global_load_b32 v6, v[6:7], off
	s_wait_alu 0xfffd
	v_add_co_ci_u32_e32 v11, vcc_lo, s3, v9, vcc_lo
	s_delay_alu instid0(VALU_DEP_1) | instskip(NEXT) | instid1(VALU_DEP_1)
	v_mad_co_u64_u32 v[2:3], null, 0x280, s12, v[10:11]
	v_mov_b32_e32 v0, v3
	s_delay_alu instid0(VALU_DEP_1)
	v_mad_co_u64_u32 v[3:4], null, 0x280, s13, v[0:1]
	global_load_b32 v0, v[8:9], off
	global_load_b32 v7, v[10:11], off
	;; [unrolled: 1-line block ×3, first 2 shown]
	v_add_co_u32 v2, vcc_lo, v2, s2
	s_wait_alu 0xfffd
	v_add_co_ci_u32_e32 v3, vcc_lo, s3, v3, vcc_lo
	v_add_nc_u32_e32 v8, 0x400, v63
	s_delay_alu instid0(VALU_DEP_3) | instskip(SKIP_1) | instid1(VALU_DEP_3)
	v_add_co_u32 v4, vcc_lo, v2, s2
	s_wait_alu 0xfffd
	v_add_co_ci_u32_e32 v5, vcc_lo, s3, v3, vcc_lo
	global_load_b32 v11, v[2:3], off
	v_add_co_u32 v2, vcc_lo, v4, s2
	s_wait_alu 0xfffd
	v_add_co_ci_u32_e32 v3, vcc_lo, s3, v5, vcc_lo
	global_load_b32 v19, v[4:5], off
	;; [unrolled: 4-line block ×5, first 2 shown]
	global_load_b32 v3, v[4:5], off
	v_add_nc_u32_e32 v9, 0xc00, v63
	s_load_b128 s[4:7], s[6:7], 0x0
	s_load_b64 s[2:3], s[0:1], 0x38
	v_cmp_gt_u16_e32 vcc_lo, 16, v1
	s_wait_loadcnt 0x1f
	v_lshrrev_b32_e32 v68, 16, v66
	s_wait_loadcnt 0x1e
	v_lshrrev_b32_e32 v67, 16, v64
	;; [unrolled: 2-line block ×9, first 2 shown]
	v_lshrrev_b32_e32 v57, 16, v54
	v_lshrrev_b32_e32 v55, 16, v52
	;; [unrolled: 1-line block ×3, first 2 shown]
	s_wait_loadcnt 0x13
	v_lshrrev_b32_e32 v41, 16, v40
	s_wait_loadcnt 0x12
	v_lshrrev_b32_e32 v39, 16, v38
	;; [unrolled: 2-line block ×5, first 2 shown]
	v_mul_f16_e32 v5, v68, v12
	s_delay_alu instid0(VALU_DEP_2) | instskip(NEXT) | instid1(VALU_DEP_2)
	v_mul_f16_e32 v26, v68, v4
	v_fma_f16 v4, v66, v4, -v5
	s_wait_loadcnt 0xe
	v_lshrrev_b32_e32 v24, 16, v13
	v_mul_f16_e32 v25, v51, v13
	s_wait_loadcnt 0xd
	v_lshrrev_b32_e32 v5, 16, v14
	v_mul_f16_e32 v29, v67, v14
	v_fmac_f16_e32 v26, v66, v12
	v_mul_f16_e32 v30, v51, v24
	v_fma_f16 v24, v48, v24, -v25
	v_mul_f16_e32 v12, v67, v5
	v_fma_f16 v5, v64, v5, -v29
	s_wait_loadcnt 0xc
	v_lshrrev_b32_e32 v25, 16, v16
	v_mul_f16_e32 v29, v65, v16
	v_fmac_f16_e32 v30, v48, v13
	v_pack_b32_f16 v4, v26, v4
	v_fmac_f16_e32 v12, v64, v14
	v_mul_f16_e32 v13, v65, v25
	v_fma_f16 v14, v61, v25, -v29
	s_wait_loadcnt 0xb
	v_lshrrev_b32_e32 v25, 16, v17
	v_mul_f16_e32 v26, v62, v17
	v_pack_b32_f16 v5, v12, v5
	v_fmac_f16_e32 v13, v61, v16
	v_pack_b32_f16 v24, v30, v24
	v_mul_f16_e32 v12, v62, v25
	v_fma_f16 v16, v58, v25, -v26
	s_wait_loadcnt 0xa
	v_lshrrev_b32_e32 v25, 16, v18
	v_mul_f16_e32 v26, v60, v18
	ds_store_2addr_b32 v63, v4, v5 offset1:80
	v_pack_b32_f16 v4, v13, v14
	v_fmac_f16_e32 v12, v58, v17
	v_mul_f16_e32 v5, v60, v25
	s_wait_loadcnt 0x9
	v_lshrrev_b32_e32 v13, 16, v6
	v_mul_f16_e32 v14, v57, v6
	v_fma_f16 v17, v56, v25, -v26
	v_pack_b32_f16 v12, v12, v16
	v_fmac_f16_e32 v5, v56, v18
	v_mul_f16_e32 v16, v57, v13
	v_fma_f16 v13, v54, v13, -v14
	v_add_nc_u32_e32 v29, 0x200, v63
	ds_store_2addr_b32 v63, v4, v12 offset0:160 offset1:240
	v_pack_b32_f16 v4, v5, v17
	v_fmac_f16_e32 v16, v54, v6
	v_add_nc_u32_e32 v30, 0xa00, v63
	s_delay_alu instid0(VALU_DEP_2)
	v_pack_b32_f16 v13, v16, v13
	s_wait_loadcnt 0x8
	v_lshrrev_b32_e32 v14, 16, v0
	v_mul_f16_e32 v18, v55, v0
	s_wait_loadcnt 0x7
	v_lshrrev_b32_e32 v6, 16, v7
	v_mul_f16_e32 v12, v53, v7
	ds_store_2addr_b32 v8, v4, v13 offset0:64 offset1:144
	v_mul_f16_e32 v5, v55, v14
	v_fma_f16 v14, v52, v14, -v18
	s_delay_alu instid0(VALU_DEP_2)
	v_fmac_f16_e32 v5, v52, v0
	v_mul_f16_e32 v0, v53, v6
	v_fma_f16 v6, v50, v6, -v12
	s_wait_loadcnt 0x6
	v_lshrrev_b32_e32 v12, 16, v10
	s_wait_loadcnt 0x5
	v_lshrrev_b32_e32 v13, 16, v11
	v_pack_b32_f16 v4, v5, v14
	v_fmac_f16_e32 v0, v50, v7
	v_mul_f16_e32 v5, v49, v10
	v_mul_f16_e32 v7, v49, v12
	;; [unrolled: 1-line block ×3, first 2 shown]
	s_delay_alu instid0(VALU_DEP_4) | instskip(NEXT) | instid1(VALU_DEP_4)
	v_pack_b32_f16 v0, v0, v6
	v_fma_f16 v5, v46, v12, -v5
	s_delay_alu instid0(VALU_DEP_4)
	v_fmac_f16_e32 v7, v46, v10
	v_mul_f16_e32 v6, v47, v13
	v_fma_f16 v10, v44, v13, -v14
	s_wait_loadcnt 0x4
	v_lshrrev_b32_e32 v12, 16, v19
	v_mul_f16_e32 v13, v45, v19
	v_pack_b32_f16 v5, v7, v5
	v_fmac_f16_e32 v6, v44, v11
	s_wait_loadcnt 0x3
	v_lshrrev_b32_e32 v7, 16, v20
	v_mul_f16_e32 v11, v45, v12
	v_fma_f16 v12, v42, v12, -v13
	v_mul_f16_e32 v13, v41, v20
	s_wait_loadcnt 0x2
	v_lshrrev_b32_e32 v14, 16, v21
	v_pack_b32_f16 v6, v6, v10
	v_mul_f16_e32 v10, v41, v7
	s_wait_loadcnt 0x1
	v_lshrrev_b32_e32 v16, 16, v2
	v_fma_f16 v7, v40, v7, -v13
	v_mul_f16_e32 v13, v39, v21
	s_wait_loadcnt 0x0
	v_lshrrev_b32_e32 v18, 16, v3
	v_mul_f16_e32 v17, v39, v14
	v_fmac_f16_e32 v11, v42, v19
	v_fmac_f16_e32 v10, v40, v20
	v_fma_f16 v13, v38, v14, -v13
	v_mul_f16_e32 v14, v37, v2
	v_mul_f16_e32 v19, v37, v16
	;; [unrolled: 1-line block ×4, first 2 shown]
	v_fmac_f16_e32 v17, v38, v21
	v_fma_f16 v14, v36, v16, -v14
	v_fmac_f16_e32 v19, v36, v2
	v_fma_f16 v2, v34, v18, -v20
	v_fmac_f16_e32 v25, v34, v3
	v_pack_b32_f16 v3, v11, v12
	v_pack_b32_f16 v7, v10, v7
	;; [unrolled: 1-line block ×5, first 2 shown]
	ds_store_2addr_b32 v22, v4, v0 offset0:96 offset1:176
	ds_store_2addr_b32 v27, v24, v5 offset0:128 offset1:208
	;; [unrolled: 1-line block ×5, first 2 shown]
	global_wb scope:SCOPE_SE
	s_wait_dscnt 0x0
	s_wait_kmcnt 0x0
	s_barrier_signal -1
	s_barrier_wait -1
	global_inv scope:SCOPE_SE
	ds_load_2addr_b32 v[2:3], v63 offset1:80
	ds_load_2addr_b32 v[4:5], v63 offset0:160 offset1:240
	ds_load_2addr_b32 v[6:7], v8 offset0:64 offset1:144
	;; [unrolled: 1-line block ×7, first 2 shown]
	v_lshlrev_b16 v0, 4, v1
	global_wb scope:SCOPE_SE
	s_wait_dscnt 0x0
	s_barrier_signal -1
	s_barrier_wait -1
	global_inv scope:SCOPE_SE
	v_and_b32_e32 v0, 0xffff, v0
	s_delay_alu instid0(VALU_DEP_1)
	v_lshlrev_b32_e32 v22, 2, v0
	v_pk_add_f16 v0, v2, v12 neg_lo:[0,1] neg_hi:[0,1]
	v_pk_add_f16 v12, v6, v16 neg_lo:[0,1] neg_hi:[0,1]
	;; [unrolled: 1-line block ×8, first 2 shown]
	v_pk_fma_f16 v4, v4, 2.0, v14 op_sel_hi:[1,0,1] neg_lo:[0,0,1] neg_hi:[0,0,1]
	v_pk_fma_f16 v10, v10, 2.0, v16 op_sel_hi:[1,0,1] neg_lo:[0,0,1] neg_hi:[0,0,1]
	v_lshrrev_b32_e32 v20, 16, v12
	v_lshrrev_b32_e32 v21, 16, v0
	;; [unrolled: 1-line block ×8, first 2 shown]
	v_pk_fma_f16 v2, v2, 2.0, v0 op_sel_hi:[1,0,1] neg_lo:[0,0,1] neg_hi:[0,0,1]
	v_pk_fma_f16 v6, v6, 2.0, v12 op_sel_hi:[1,0,1] neg_lo:[0,0,1] neg_hi:[0,0,1]
	v_pk_fma_f16 v3, v3, 2.0, v13 op_sel_hi:[1,0,1] neg_lo:[0,0,1] neg_hi:[0,0,1]
	v_pk_fma_f16 v7, v7, 2.0, v17 op_sel_hi:[1,0,1] neg_lo:[0,0,1] neg_hi:[0,0,1]
	v_pk_fma_f16 v5, v5, 2.0, v18 op_sel_hi:[1,0,1] neg_lo:[0,0,1] neg_hi:[0,0,1]
	v_pk_fma_f16 v11, v11, 2.0, v19 op_sel_hi:[1,0,1] neg_lo:[0,0,1] neg_hi:[0,0,1]
	v_sub_f16_e32 v20, v0, v20
	v_add_f16_e32 v12, v21, v12
	v_pk_add_f16 v10, v4, v10 neg_lo:[0,1] neg_hi:[0,1]
	v_sub_f16_e32 v23, v14, v23
	v_add_f16_e32 v16, v24, v16
	v_sub_f16_e32 v25, v13, v25
	v_add_f16_e32 v17, v26, v17
	;; [unrolled: 2-line block ×3, first 2 shown]
	v_pk_add_f16 v6, v2, v6 neg_lo:[0,1] neg_hi:[0,1]
	v_pk_add_f16 v7, v3, v7 neg_lo:[0,1] neg_hi:[0,1]
	;; [unrolled: 1-line block ×3, first 2 shown]
	v_fma_f16 v33, v0, 2.0, -v20
	v_fma_f16 v21, v21, 2.0, -v12
	v_pk_fma_f16 v0, v4, 2.0, v10 op_sel_hi:[1,0,1] neg_lo:[0,0,1] neg_hi:[0,0,1]
	v_fma_f16 v4, v14, 2.0, -v23
	v_fma_f16 v14, v24, 2.0, -v16
	;; [unrolled: 1-line block ×6, first 2 shown]
	v_fmamk_f16 v70, v23, 0x39a8, v20
	v_fmamk_f16 v71, v16, 0x39a8, v12
	v_pk_fma_f16 v2, v2, 2.0, v6 op_sel_hi:[1,0,1] neg_lo:[0,0,1] neg_hi:[0,0,1]
	v_pk_fma_f16 v3, v3, 2.0, v7 op_sel_hi:[1,0,1] neg_lo:[0,0,1] neg_hi:[0,0,1]
	;; [unrolled: 1-line block ×3, first 2 shown]
	v_lshrrev_b32_e32 v32, 16, v10
	v_lshrrev_b32_e32 v69, 16, v6
	;; [unrolled: 1-line block ×4, first 2 shown]
	v_fmamk_f16 v74, v31, 0x39a8, v25
	v_fmamk_f16 v75, v19, 0x39a8, v17
	;; [unrolled: 1-line block ×4, first 2 shown]
	v_fmac_f16_e32 v70, 0xb9a8, v16
	v_fmac_f16_e32 v71, 0x39a8, v23
	v_fmamk_f16 v16, v18, 0xb9a8, v13
	v_fmamk_f16 v23, v26, 0xb9a8, v24
	v_pk_add_f16 v76, v2, v0 neg_lo:[0,1] neg_hi:[0,1]
	v_sub_f16_e32 v32, v6, v32
	v_add_f16_e32 v79, v69, v10
	v_pk_add_f16 v5, v3, v5 neg_lo:[0,1] neg_hi:[0,1]
	v_sub_f16_e32 v10, v7, v72
	v_add_f16_e32 v11, v73, v11
	v_fmac_f16_e32 v74, 0xb9a8, v19
	v_fmac_f16_e32 v75, 0x39a8, v31
	;; [unrolled: 1-line block ×6, first 2 shown]
	v_pk_fma_f16 v19, v2, 2.0, v76 op_sel_hi:[1,0,1] neg_lo:[0,0,1] neg_hi:[0,0,1]
	v_fma_f16 v4, v6, 2.0, -v32
	v_fma_f16 v6, v69, 2.0, -v79
	;; [unrolled: 1-line block ×4, first 2 shown]
	v_pk_fma_f16 v2, v3, 2.0, v5 op_sel_hi:[1,0,1] neg_lo:[0,0,1] neg_hi:[0,0,1]
	v_fma_f16 v3, v7, 2.0, -v10
	v_fma_f16 v7, v73, 2.0, -v11
	v_fma_f16 v18, v25, 2.0, -v74
	v_fma_f16 v17, v17, 2.0, -v75
	v_lshrrev_b32_e32 v25, 16, v5
	v_lshrrev_b32_e32 v26, 16, v76
	v_fmamk_f16 v31, v10, 0x39a8, v32
	v_fmamk_f16 v69, v11, 0x39a8, v79
	;; [unrolled: 1-line block ×3, first 2 shown]
	v_fma_f16 v33, v33, 2.0, -v77
	v_fma_f16 v21, v21, 2.0, -v78
	;; [unrolled: 1-line block ×4, first 2 shown]
	v_fmamk_f16 v0, v74, 0x3b64, v70
	v_fmamk_f16 v72, v3, 0xb9a8, v4
	v_fmamk_f16 v73, v7, 0xb9a8, v6
	v_fmamk_f16 v80, v18, 0xb61f, v20
	v_fmamk_f16 v81, v17, 0xb61f, v12
	v_sub_f16_e32 v25, v76, v25
	v_add_f16_e32 v5, v26, v5
	v_fmamk_f16 v82, v16, 0x361f, v77
	v_fmac_f16_e32 v31, 0xb9a8, v11
	v_fmac_f16_e32 v69, 0x39a8, v10
	;; [unrolled: 1-line block ×3, first 2 shown]
	v_fmamk_f16 v11, v13, 0xbb64, v33
	v_fmamk_f16 v74, v24, 0xbb64, v21
	;; [unrolled: 1-line block ×3, first 2 shown]
	v_fmac_f16_e32 v72, 0xb9a8, v7
	v_fmac_f16_e32 v73, 0x39a8, v3
	;; [unrolled: 1-line block ×4, first 2 shown]
	v_fma_f16 v3, v76, 2.0, -v25
	v_fma_f16 v7, v26, 2.0, -v5
	v_fmac_f16_e32 v82, 0xbb64, v23
	v_fma_f16 v17, v32, 2.0, -v31
	v_fma_f16 v23, v79, 2.0, -v69
	v_fmac_f16_e32 v11, 0xb61f, v24
	v_fmac_f16_e32 v74, 0x361f, v13
	;; [unrolled: 1-line block ×4, first 2 shown]
	v_pk_add_f16 v2, v19, v2 neg_lo:[0,1] neg_hi:[0,1]
	v_pack_b32_f16 v16, v25, v5
	v_fma_f16 v24, v4, 2.0, -v72
	v_fma_f16 v6, v6, 2.0, -v73
	;; [unrolled: 1-line block ×4, first 2 shown]
	v_pack_b32_f16 v25, v17, v23
	v_pack_b32_f16 v23, v3, v7
	v_fma_f16 v7, v33, 2.0, -v11
	v_fma_f16 v21, v21, 2.0, -v74
	;; [unrolled: 1-line block ×4, first 2 shown]
	v_pack_b32_f16 v18, v31, v69
	v_fma_f16 v20, v77, 2.0, -v82
	v_fma_f16 v31, v78, 2.0, -v83
	v_pack_b32_f16 v5, v80, v81
	v_pack_b32_f16 v4, v72, v73
	;; [unrolled: 1-line block ×3, first 2 shown]
	v_pk_fma_f16 v10, v19, 2.0, v2 op_sel_hi:[1,0,1] neg_lo:[0,0,1] neg_hi:[0,0,1]
	v_pack_b32_f16 v19, v0, v14
	v_pack_b32_f16 v17, v82, v83
	;; [unrolled: 1-line block ×7, first 2 shown]
	ds_store_b128 v22, v[2:5] offset:32
	ds_store_b128 v22, v[16:19] offset:48
	ds_store_b128 v22, v[10:13]
	ds_store_b128 v22, v[23:26] offset:16
	global_wb scope:SCOPE_SE
	s_wait_dscnt 0x0
	s_barrier_signal -1
	s_barrier_wait -1
	global_inv scope:SCOPE_SE
	ds_load_2addr_b32 v[4:5], v63 offset1:80
	ds_load_2addr_b32 v[2:3], v29 offset0:32 offset1:128
	ds_load_2addr_b32 v[16:17], v27 offset1:80
	ds_load_2addr_b32 v[6:7], v30 offset0:32 offset1:128
	;; [unrolled: 2-line block ×3, first 2 shown]
	ds_load_2addr_b32 v[8:9], v9 offset0:80 offset1:160
	ds_load_b32 v26, v63 offset:4736
	v_add_co_u32 v20, s0, s8, v63
	s_wait_alu 0xf1ff
	v_add_co_ci_u32_e64 v21, null, s9, 0, s0
                                        ; kill: def $vgpr1 killed $sgpr0 killed $exec
                                        ; implicit-def: $vgpr28
                                        ; implicit-def: $vgpr18
                                        ; implicit-def: $vgpr29
                                        ; implicit-def: $vgpr30
                                        ; implicit-def: $vgpr27
                                        ; implicit-def: $vgpr31
	s_and_saveexec_b32 s0, vcc_lo
	s_cbranch_execz .LBB0_3
; %bb.2:
	v_add_nc_u32_e32 v14, 0xc0, v63
	ds_load_2addr_stride64_b32 v[0:1], v14 offset0:3 offset1:7
	ds_load_2addr_stride64_b32 v[18:19], v14 offset0:11 offset1:15
	ds_load_b32 v27, v63 offset:5056
	s_wait_dscnt 0x2
	v_lshrrev_b32_e32 v14, 16, v0
	v_lshrrev_b32_e32 v28, 16, v1
	s_wait_dscnt 0x1
	v_lshrrev_b32_e32 v29, 16, v18
	v_lshrrev_b32_e32 v30, 16, v19
	s_wait_dscnt 0x0
	v_lshrrev_b32_e32 v31, 16, v27
.LBB0_3:
	s_wait_alu 0xfffe
	s_or_b32 exec_lo, exec_lo, s0
	v_lshlrev_b32_e32 v23, 4, v59
	v_and_b32_e32 v78, 15, v59
	v_add_nc_u32_e32 v79, 0x50, v59
	v_add_nc_u32_e32 v80, 0xa0, v59
	v_lshrrev_b32_e32 v86, 4, v59
	v_and_b32_e32 v23, 0xf0, v23
	s_wait_dscnt 0x6
	v_lshrrev_b32_e32 v93, 16, v3
	v_lshrrev_b32_e32 v79, 4, v79
	;; [unrolled: 1-line block ×3, first 2 shown]
	v_mul_u32_u24_e32 v86, 0x50, v86
	s_clause 0x7
	global_load_b32 v69, v23, s[10:11]
	global_load_b32 v73, v23, s[10:11] offset:2
	global_load_b32 v70, v23, s[10:11] offset:4
	;; [unrolled: 1-line block ×6, first 2 shown]
	global_load_u16 v76, v23, s[10:11] offset:14
	v_lshlrev_b32_e32 v23, 4, v78
	s_wait_dscnt 0x5
	v_lshrrev_b32_e32 v85, 16, v16
	s_wait_dscnt 0x4
	v_lshrrev_b32_e32 v84, 16, v7
	;; [unrolled: 2-line block ×4, first 2 shown]
	global_load_u16 v77, v23, s[10:11]
	v_mul_u32_u24_e32 v79, 0x50, v79
	v_mul_u32_u24_e32 v80, 0x50, v80
	v_or_b32_e32 v86, v86, v78
	v_lshrrev_b32_e32 v81, 16, v17
	s_wait_dscnt 0x1
	v_lshrrev_b32_e32 v33, 16, v8
	v_lshrrev_b32_e32 v32, 16, v13
	;; [unrolled: 1-line block ×5, first 2 shown]
	s_wait_dscnt 0x0
	v_lshrrev_b32_e32 v101, 16, v26
	v_or_b32_e32 v79, v79, v78
	v_or_b32_e32 v78, v80, v78
	v_lshlrev_b32_e32 v80, 2, v86
	v_lshrrev_b32_e32 v23, 16, v4
	v_lshrrev_b32_e32 v24, 16, v5
	;; [unrolled: 1-line block ×3, first 2 shown]
	v_lshlrev_b32_e32 v79, 2, v79
	v_lshlrev_b32_e32 v78, 2, v78
	global_wb scope:SCOPE_SE
	s_wait_loadcnt 0x0
	s_barrier_signal -1
	s_barrier_wait -1
	global_inv scope:SCOPE_SE
	v_lshrrev_b32_e32 v92, 16, v69
	v_mul_f16_e32 v102, v28, v73
	v_lshrrev_b32_e32 v91, 16, v70
	v_mul_f16_e32 v97, v1, v73
	;; [unrolled: 2-line block ×4, first 2 shown]
	v_mul_f16_e32 v104, v30, v75
	v_mul_f16_e32 v95, v19, v75
	v_mul_f16_e32 v105, v31, v76
	v_mul_f16_e32 v96, v27, v76
	v_lshrrev_b32_e32 v90, 16, v73
	v_lshrrev_b32_e32 v88, 16, v74
	;; [unrolled: 1-line block ×3, first 2 shown]
	v_mul_f16_e32 v106, v93, v92
	v_mul_f16_e32 v107, v3, v92
	v_mul_f16_e32 v108, v85, v91
	v_mul_f16_e32 v109, v16, v91
	v_mul_f16_e32 v110, v84, v89
	v_mul_f16_e32 v111, v7, v89
	v_mul_f16_e32 v112, v82, v87
	v_mul_f16_e32 v113, v12, v87
	v_mul_f16_e32 v114, v83, v92
	v_mul_f16_e32 v115, v10, v92
	v_mul_f16_e32 v123, v11, v92
	v_mul_f16_e32 v127, v9, v89
	v_fma_f16 v1, v1, v69, -v102
	v_fmac_f16_e32 v97, v28, v69
	v_fma_f16 v28, v18, v70, -v103
	v_fmac_f16_e32 v94, v29, v70
	;; [unrolled: 2-line block ×4, first 2 shown]
	v_mul_f16_e32 v117, v17, v91
	v_mul_f16_e32 v119, v8, v89
	;; [unrolled: 1-line block ×10, first 2 shown]
	v_mul_f16_e64 v128, v101, v87
	v_mul_f16_e64 v129, v26, v87
	v_fma_f16 v3, v3, v77, -v106
	v_fmac_f16_e32 v107, v93, v77
	v_fma_f16 v16, v16, v90, -v108
	v_fmac_f16_e32 v109, v85, v90
	;; [unrolled: 2-line block ×5, first 2 shown]
	v_fmac_f16_e32 v123, v98, v77
	v_fmac_f16_e32 v127, v100, v88
	v_sub_f16_e32 v19, v1, v28
	v_sub_f16_e32 v30, v27, v29
	;; [unrolled: 1-line block ×4, first 2 shown]
	v_add_f16_e32 v84, v1, v27
	v_add_f16_e32 v100, v97, v96
	v_fmac_f16_e32 v117, v81, v90
	v_fmac_f16_e32 v119, v33, v88
	v_add_f16_e32 v18, v28, v29
	v_sub_f16_e32 v33, v97, v94
	v_sub_f16_e32 v81, v96, v95
	v_add_f16_e32 v85, v94, v95
	v_fma_f16 v17, v17, v90, -v116
	v_fma_f16 v8, v8, v88, -v118
	;; [unrolled: 1-line block ×3, first 2 shown]
	v_fmac_f16_e32 v121, v32, v86
	v_fma_f16 v11, v11, v77, -v122
	v_fma_f16 v6, v6, v90, -v124
	v_fmac_f16_e32 v125, v99, v90
	v_fma_f16 v9, v9, v88, -v126
	v_fma_f16 v26, v26, v86, -v128
	v_fmac_f16_e64 v129, v101, v86
	v_sub_f16_e32 v98, v94, v95
	v_sub_f16_e32 v101, v28, v29
	;; [unrolled: 1-line block ×6, first 2 shown]
	v_add_f16_e32 v108, v23, v107
	v_add_f16_e32 v110, v109, v111
	;; [unrolled: 1-line block ×3, first 2 shown]
	v_add_f16_e64 v133, v24, v115
	v_add_f16_e32 v30, v19, v30
	v_add_f16_e64 v137, v82, v83
	v_add_f16_e64 v147, v25, v123
	;; [unrolled: 1-line block ×3, first 2 shown]
	v_fma_f16 v19, -0.5, v84, v0
	v_fma_f16 v83, -0.5, v100, v14
	v_sub_f16_e32 v93, v97, v96
	v_sub_f16_e32 v99, v1, v27
	v_add_f16_e32 v116, v107, v113
	v_add_f16_e32 v33, v33, v81
	v_fma_f16 v81, -0.5, v18, v0
	v_fma_f16 v82, -0.5, v85, v14
	v_add_f16_e32 v100, v3, v12
	v_add_f16_e32 v102, v4, v3
	v_sub_f16_e32 v112, v107, v109
	v_sub_f16_e32 v114, v113, v111
	;; [unrolled: 1-line block ×4, first 2 shown]
	v_add_f16_e32 v124, v17, v8
	v_add_f16_e64 v134, v117, v119
	v_add_f16_e64 v130, v10, v13
	;; [unrolled: 1-line block ×3, first 2 shown]
	v_sub_f16_e32 v126, v10, v17
	v_sub_f16_e64 v128, v13, v8
	v_sub_f16_e64 v131, v17, v10
	;; [unrolled: 1-line block ×5, first 2 shown]
	v_add_f16_e64 v140, v2, v11
	v_add_f16_e64 v141, v6, v9
	;; [unrolled: 1-line block ×4, first 2 shown]
	v_sub_f16_e64 v149, v123, v125
	v_add_f16_e64 v151, v123, v129
	v_sub_f16_e64 v152, v125, v123
	v_sub_f16_e64 v156, v109, v111
	;; [unrolled: 1-line block ×4, first 2 shown]
	v_sub_f16_e32 v3, v3, v12
	v_sub_f16_e32 v107, v107, v113
	v_add_f16_e32 v103, v103, v104
	v_add_f16_e32 v104, v105, v106
	v_fma_f16 v106, -0.5, v110, v23
	v_add_f16_e32 v108, v108, v109
	v_add_f16_e64 v109, v133, v117
	v_add_f16_e32 v117, v122, v17
	v_add_f16_e64 v122, v147, v125
	v_fmamk_f16 v18, v98, 0xbb9c, v19
	v_fmac_f16_e32 v19, 0x3b9c, v98
	v_fmamk_f16 v84, v101, 0x3b9c, v83
	v_fmac_f16_e32 v83, 0xbb9c, v101
	v_fma_f16 v125, -0.5, v154, v4
	v_sub_f16_e64 v155, v16, v7
	v_sub_f16_e64 v158, v17, v8
	v_fmac_f16_e32 v23, -0.5, v116
	v_fmamk_f16 v17, v93, 0x3b9c, v81
	v_fmac_f16_e32 v81, 0xbb9c, v93
	v_fmamk_f16 v85, v99, 0xbb9c, v82
	v_fmac_f16_e32 v82, 0x3b9c, v99
	v_fma_f16 v4, -0.5, v100, v4
	v_sub_f16_e32 v31, v28, v1
	v_sub_f16_e32 v32, v29, v27
	;; [unrolled: 1-line block ×4, first 2 shown]
	v_add_f16_e32 v105, v112, v114
	v_add_f16_e32 v110, v118, v120
	v_fma_f16 v114, -0.5, v124, v5
	v_fma_f16 v118, -0.5, v134, v24
	v_add_f16_e32 v16, v102, v16
	v_fmac_f16_e64 v5, -0.5, v130
	v_fmac_f16_e64 v24, -0.5, v136
	v_sub_f16_e64 v142, v11, v6
	v_sub_f16_e64 v145, v6, v11
	v_sub_f16_e64 v160, v6, v9
	v_sub_f16_e64 v123, v123, v129
	v_sub_f16_e32 v11, v11, v26
	v_add_f16_e64 v112, v126, v128
	v_add_f16_e64 v116, v131, v132
	v_fma_f16 v126, -0.5, v141, v2
	v_fmac_f16_e64 v2, -0.5, v144
	v_fma_f16 v131, -0.5, v148, v25
	v_fmac_f16_e64 v25, -0.5, v151
	v_add_f16_e64 v6, v140, v6
	v_fmac_f16_e32 v18, 0x38b4, v93
	v_fmac_f16_e32 v19, 0xb8b4, v93
	;; [unrolled: 1-line block ×4, first 2 shown]
	v_fmamk_f16 v93, v107, 0x3b9c, v125
	v_fmamk_f16 v99, v3, 0xbb9c, v106
	v_fmac_f16_e32 v17, 0x38b4, v98
	v_fmac_f16_e32 v81, 0xb8b4, v98
	;; [unrolled: 1-line block ×4, first 2 shown]
	v_fma_f16 v98, 0xbb9c, v156, v4
	v_fmac_f16_e64 v4, 0x3b9c, v156
	v_fma_f16 v101, 0x3b9c, v155, v23
	v_fmac_f16_e64 v23, 0xbb9c, v155
	v_fmac_f16_e32 v125, 0xbb9c, v107
	v_fmac_f16_e32 v106, 0x3b9c, v3
	v_add_f16_e32 v31, v31, v32
	v_sub_f16_e32 v32, v121, v119
	v_add_f16_e32 v7, v16, v7
	v_add_f16_e32 v16, v108, v111
	v_fmamk_f16 v108, v115, 0x3b9c, v114
	v_fmamk_f16 v111, v10, 0xbb9c, v118
	v_sub_f16_e64 v139, v119, v121
	v_add_f16_e32 v8, v117, v8
	v_add_f16_e32 v100, v109, v119
	v_fma_f16 v109, 0xbb9c, v157, v5
	v_fmac_f16_e64 v5, 0x3b9c, v157
	v_fma_f16 v117, 0x3b9c, v158, v24
	v_fmac_f16_e64 v24, 0xbb9c, v158
	v_sub_f16_e64 v143, v26, v9
	v_sub_f16_e64 v146, v9, v26
	;; [unrolled: 1-line block ×4, first 2 shown]
	v_add_f16_e32 v6, v6, v9
	v_add_f16_e32 v9, v122, v127
	v_fmac_f16_e32 v114, 0xbb9c, v115
	v_fmac_f16_e32 v118, 0x3b9c, v10
	v_fmamk_f16 v119, v123, 0x3b9c, v126
	v_fmac_f16_e32 v126, 0xbb9c, v123
	v_fma_f16 v122, 0xbb9c, v159, v2
	v_fmac_f16_e64 v2, 0x3b9c, v159
	v_fma_f16 v127, 0xbb9c, v11, v131
	v_fmac_f16_e64 v131, 0x3b9c, v11
	;; [unrolled: 2-line block ×3, first 2 shown]
	v_fmac_f16_e64 v93, 0x38b4, v156
	v_fmac_f16_e64 v99, 0xb8b4, v155
	v_fmac_f16_e32 v98, 0x38b4, v107
	v_fmac_f16_e32 v4, 0xb8b4, v107
	;; [unrolled: 1-line block ×4, first 2 shown]
	v_fmac_f16_e64 v125, 0xb8b4, v156
	v_fmac_f16_e64 v106, 0x38b4, v155
	v_add_f16_e64 v32, v135, v32
	v_fmac_f16_e64 v108, 0x38b4, v157
	v_fmac_f16_e64 v111, 0xb8b4, v158
	v_add_f16_e64 v120, v138, v139
	v_fmac_f16_e32 v109, 0x38b4, v115
	v_fmac_f16_e32 v5, 0xb8b4, v115
	;; [unrolled: 1-line block ×4, first 2 shown]
	v_add_f16_e64 v124, v142, v143
	v_add_f16_e64 v128, v145, v146
	;; [unrolled: 1-line block ×4, first 2 shown]
	v_add_f16_e32 v7, v7, v12
	v_add_f16_e32 v12, v16, v113
	;; [unrolled: 1-line block ×3, first 2 shown]
	v_fmac_f16_e64 v114, 0xb8b4, v157
	v_add_f16_e32 v8, v100, v121
	v_fmac_f16_e64 v118, 0x38b4, v158
	v_fmac_f16_e64 v119, 0x38b4, v159
	;; [unrolled: 1-line block ×3, first 2 shown]
	v_fmac_f16_e32 v122, 0x38b4, v123
	v_fmac_f16_e32 v2, 0xb8b4, v123
	v_fmac_f16_e64 v127, 0xb8b4, v160
	v_fmac_f16_e64 v131, 0x38b4, v160
	;; [unrolled: 1-line block ×3, first 2 shown]
	v_fmac_f16_e32 v25, 0x38b4, v11
	v_fmac_f16_e32 v93, 0x34f2, v103
	;; [unrolled: 1-line block ×3, first 2 shown]
	v_add_f16_e32 v6, v6, v26
	v_add_f16_e64 v9, v9, v129
	v_fmac_f16_e32 v98, 0x34f2, v104
	v_fmac_f16_e32 v4, 0x34f2, v104
	;; [unrolled: 1-line block ×18, first 2 shown]
	v_fmac_f16_e64 v84, 0x34f2, v137
	v_fmac_f16_e64 v83, 0x34f2, v137
	v_fmac_f16_e32 v114, 0x34f2, v112
	v_fmac_f16_e32 v118, 0x34f2, v32
	;; [unrolled: 1-line block ×4, first 2 shown]
	v_fmac_f16_e64 v122, 0x34f2, v128
	v_fmac_f16_e64 v2, 0x34f2, v128
	v_fmac_f16_e64 v127, 0x34f2, v130
	v_fmac_f16_e64 v131, 0x34f2, v130
	v_fmac_f16_e64 v132, 0x34f2, v102
	v_fmac_f16_e32 v25, 0x34f2, v102
	v_pack_b32_f16 v7, v7, v12
	v_pack_b32_f16 v3, v3, v8
	;; [unrolled: 1-line block ×15, first 2 shown]
	ds_store_2addr_b32 v80, v7, v8 offset1:16
	ds_store_2addr_b32 v80, v9, v4 offset0:32 offset1:48
	ds_store_b32 v80, v10 offset:256
	ds_store_2addr_b32 v79, v3, v11 offset1:16
	ds_store_2addr_b32 v79, v12, v5 offset0:32 offset1:48
	ds_store_b32 v79, v13 offset:256
	;; [unrolled: 3-line block ×3, first 2 shown]
	s_and_saveexec_b32 s0, vcc_lo
	s_cbranch_execz .LBB0_5
; %bb.4:
	v_add_f16_e32 v2, v14, v97
	v_add_f16_e32 v0, v0, v1
	v_add_nc_u32_e32 v3, 0x1000, v63
	v_perm_b32 v4, v84, v18, 0x5040100
	v_perm_b32 v5, v83, v19, 0x5040100
	v_add_f16_e32 v1, v2, v94
	v_add_f16_e32 v0, v0, v28
	v_perm_b32 v2, v85, v17, 0x5040100
	s_delay_alu instid0(VALU_DEP_3) | instskip(NEXT) | instid1(VALU_DEP_3)
	v_add_f16_e32 v1, v1, v95
	v_add_f16_e32 v0, v0, v29
	s_delay_alu instid0(VALU_DEP_2) | instskip(NEXT) | instid1(VALU_DEP_2)
	v_add_f16_e32 v1, v1, v96
	v_add_f16_e32 v0, v0, v27
	s_delay_alu instid0(VALU_DEP_1)
	v_pack_b32_f16 v0, v0, v1
	v_perm_b32 v1, v82, v81, 0x5040100
	ds_store_2addr_b32 v3, v4, v5 offset0:208 offset1:224
	ds_store_2addr_b32 v3, v0, v2 offset0:176 offset1:192
	ds_store_b32 v63, v1 offset:5056
.LBB0_5:
	s_wait_alu 0xfffe
	s_or_b32 exec_lo, exec_lo, s0
	v_mad_co_u64_u32 v[12:13], null, v59, 60, s[10:11]
	global_wb scope:SCOPE_SE
	s_wait_dscnt 0x0
	s_barrier_signal -1
	s_barrier_wait -1
	global_inv scope:SCOPE_SE
	v_add_nc_u32_e32 v24, 0x400, v63
	v_add_nc_u32_e32 v16, 0x600, v63
	s_clause 0x3
	global_load_b128 v[4:7], v[12:13], off offset:256
	global_load_b128 v[8:11], v[12:13], off offset:272
	;; [unrolled: 1-line block ×3, first 2 shown]
	global_load_b96 v[12:14], v[12:13], off offset:304
	v_add_nc_u32_e32 v26, 0x800, v63
	v_add_nc_u32_e32 v25, 0xc00, v63
	;; [unrolled: 1-line block ×4, first 2 shown]
	ds_load_2addr_b32 v[29:30], v63 offset1:80
	ds_load_2addr_b32 v[31:32], v63 offset0:160 offset1:240
	ds_load_2addr_b32 v[108:109], v24 offset0:64 offset1:144
	;; [unrolled: 1-line block ×7, first 2 shown]
	v_lshlrev_b32_e32 v27, 2, v59
	s_add_nc_u64 s[0:1], s[8:9], 0x1400
	s_wait_dscnt 0x7
	v_lshrrev_b32_e32 v120, 16, v30
	s_wait_dscnt 0x6
	v_lshrrev_b32_e32 v121, 16, v31
	v_lshrrev_b32_e32 v122, 16, v32
	s_wait_dscnt 0x5
	v_lshrrev_b32_e32 v123, 16, v108
	;; [unrolled: 3-line block ×7, first 2 shown]
	v_lshrrev_b32_e32 v134, 16, v119
	v_lshrrev_b32_e32 v33, 16, v29
	s_wait_loadcnt 0x3
	v_lshrrev_b32_e32 v107, 16, v4
	v_lshrrev_b32_e32 v106, 16, v5
	v_lshrrev_b32_e32 v105, 16, v6
	v_lshrrev_b32_e32 v104, 16, v7
	s_wait_loadcnt 0x2
	v_lshrrev_b32_e32 v103, 16, v8
	v_lshrrev_b32_e32 v102, 16, v9
	;; [unrolled: 5-line block ×4, first 2 shown]
	v_lshrrev_b32_e32 v93, 16, v14
	v_mul_f16_e64 v135, v120, v107
	v_mul_f16_e64 v136, v30, v107
	;; [unrolled: 1-line block ×30, first 2 shown]
	v_fma_f16 v30, v30, v4, -v135
	v_fmac_f16_e64 v136, v120, v4
	v_fma_f16 v31, v31, v5, -v137
	v_fmac_f16_e64 v138, v121, v5
	;; [unrolled: 2-line block ×15, first 2 shown]
	v_sub_f16_e32 v112, v29, v112
	v_sub_f16_e64 v120, v33, v150
	v_sub_f16_e32 v116, v108, v116
	v_sub_f16_e64 v121, v142, v158
	;; [unrolled: 2-line block ×8, first 2 shown]
	v_fma_f16 v33, v33, 2.0, -v120
	v_fma_f16 v108, v108, 2.0, -v116
	;; [unrolled: 1-line block ×12, first 2 shown]
	v_sub_f16_e32 v121, v112, v121
	v_add_f16_e32 v116, v120, v116
	v_sub_f16_e32 v123, v114, v123
	v_add_f16_e32 v118, v122, v118
	;; [unrolled: 2-line block ×4, first 2 shown]
	v_fma_f16 v29, v29, 2.0, -v112
	v_fma_f16 v31, v31, 2.0, -v114
	;; [unrolled: 1-line block ×4, first 2 shown]
	v_sub_f16_e64 v128, v33, v128
	v_fma_f16 v112, v112, 2.0, -v121
	v_fma_f16 v120, v120, 2.0, -v116
	v_sub_f16_e64 v130, v129, v130
	v_fma_f16 v114, v114, 2.0, -v123
	v_fma_f16 v122, v122, 2.0, -v118
	;; [unrolled: 3-line block ×4, first 2 shown]
	v_fma_f16 v135, 0x39a8, v123, v121
	v_fma_f16 v136, 0x39a8, v118, v116
	v_sub_f16_e32 v108, v29, v108
	v_sub_f16_e32 v110, v31, v110
	;; [unrolled: 1-line block ×4, first 2 shown]
	v_fma_f16 v137, 0x39a8, v127, v125
	v_fma_f16 v33, v33, 2.0, -v128
	v_fma_f16 v129, v129, 2.0, -v130
	;; [unrolled: 1-line block ×4, first 2 shown]
	v_fma_f16 v139, 0xb9a8, v114, v112
	v_fma_f16 v140, 0xb9a8, v122, v120
	v_fmac_f16_e64 v135, 0xb9a8, v118
	v_fmac_f16_e64 v136, 0x39a8, v123
	v_fmamk_f16 v118, v115, 0xb9a8, v113
	v_fmamk_f16 v123, v126, 0xb9a8, v124
	v_fma_f16 v138, 0x39a8, v119, v117
	v_fma_f16 v29, v29, 2.0, -v108
	v_fma_f16 v31, v31, 2.0, -v110
	;; [unrolled: 1-line block ×4, first 2 shown]
	v_sub_f16_e64 v130, v108, v130
	v_add_f16_e64 v110, v128, v110
	v_sub_f16_e64 v134, v109, v134
	v_add_f16_e64 v111, v132, v111
	v_fmac_f16_e64 v137, 0xb9a8, v119
	v_sub_f16_e64 v119, v33, v129
	v_fmac_f16_e64 v139, 0xb9a8, v122
	v_fmac_f16_e64 v140, 0x39a8, v114
	v_sub_f16_e64 v122, v131, v133
	v_fmac_f16_e32 v118, 0xb9a8, v126
	v_fmac_f16_e32 v123, 0x39a8, v115
	v_fmac_f16_e64 v138, 0x39a8, v127
	v_sub_f16_e32 v31, v29, v31
	v_fma_f16 v108, v108, 2.0, -v130
	v_fma_f16 v114, v128, 2.0, -v110
	v_sub_f16_e32 v32, v30, v32
	v_fma_f16 v109, v109, 2.0, -v134
	v_fma_f16 v115, v132, 2.0, -v111
	v_fma_f16 v126, 0x39a8, v134, v130
	v_fmamk_f16 v127, v111, 0x39a8, v110
	v_fma_f16 v33, v33, 2.0, -v119
	v_fma_f16 v112, v112, 2.0, -v139
	;; [unrolled: 1-line block ×12, first 2 shown]
	v_fma_f16 v132, 0xb9a8, v109, v108
	v_fma_f16 v133, 0xb9a8, v115, v114
	v_fmac_f16_e32 v126, 0xb9a8, v111
	v_fmac_f16_e64 v127, 0x39a8, v134
	v_sub_f16_e64 v111, v33, v131
	v_fma_f16 v131, 0xbb64, v113, v112
	v_fma_f16 v134, 0xbb64, v124, v120
	v_fma_f16 v141, 0xb61f, v125, v121
	v_fma_f16 v142, 0xb61f, v117, v116
	v_fma_f16 v143, 0x361f, v118, v139
	v_fma_f16 v144, 0x361f, v123, v140
	v_fma_f16 v128, 0x3b64, v137, v135
	v_fma_f16 v129, 0x3b64, v138, v136
	v_sub_f16_e32 v30, v29, v30
	v_fmac_f16_e64 v132, 0xb9a8, v115
	v_fmac_f16_e64 v133, 0x39a8, v109
	;; [unrolled: 1-line block ×6, first 2 shown]
	v_sub_f16_e32 v122, v31, v122
	v_add_f16_e32 v32, v119, v32
	v_fmac_f16_e64 v143, 0xbb64, v123
	v_fmac_f16_e64 v144, 0x3b64, v118
	;; [unrolled: 1-line block ×4, first 2 shown]
	v_fma_f16 v29, v29, 2.0, -v30
	v_fma_f16 v33, v33, 2.0, -v111
	;; [unrolled: 1-line block ×4, first 2 shown]
	v_pack_b32_f16 v30, v30, v111
	v_fma_f16 v111, v112, 2.0, -v131
	v_fma_f16 v112, v120, 2.0, -v134
	;; [unrolled: 1-line block ×12, first 2 shown]
	v_pack_b32_f16 v29, v29, v33
	v_pack_b32_f16 v33, v108, v113
	;; [unrolled: 1-line block ×15, first 2 shown]
	ds_store_2addr_b32 v63, v29, v108 offset1:80
	ds_store_2addr_b32 v63, v33, v111 offset0:160 offset1:240
	ds_store_2addr_b32 v24, v31, v112 offset0:64 offset1:144
	;; [unrolled: 1-line block ×7, first 2 shown]
	global_wb scope:SCOPE_SE
	s_wait_dscnt 0x0
	s_barrier_signal -1
	s_barrier_wait -1
	global_inv scope:SCOPE_SE
	s_clause 0xf
	global_load_b32 v29, v[20:21], off offset:5120
	global_load_b32 v30, v27, s[0:1] offset:320
	global_load_b32 v33, v27, s[0:1] offset:640
	;; [unrolled: 1-line block ×15, first 2 shown]
	ds_load_2addr_b32 v[20:21], v63 offset1:80
	s_wait_dscnt 0x0
	v_lshrrev_b32_e32 v31, 16, v20
	v_lshrrev_b32_e32 v108, 16, v21
	s_wait_loadcnt 0xf
	v_lshrrev_b32_e32 v32, 16, v29
	s_wait_loadcnt 0xe
	;; [unrolled: 2-line block ×5, first 2 shown]
	v_lshrrev_b32_e32 v130, 16, v117
	v_mul_f16_e32 v110, v31, v32
	v_mul_f16_e32 v32, v20, v32
	;; [unrolled: 1-line block ×4, first 2 shown]
	s_wait_loadcnt 0xa
	v_lshrrev_b32_e32 v131, 16, v118
	v_fma_f16 v20, v20, v29, -v110
	v_fmac_f16_e32 v32, v31, v29
	v_fma_f16 v21, v21, v30, -v111
	v_fmac_f16_e32 v109, v108, v30
	s_wait_loadcnt 0x9
	v_lshrrev_b32_e32 v132, 16, v119
	s_wait_loadcnt 0x8
	v_lshrrev_b32_e32 v133, 16, v120
	v_pack_b32_f16 v20, v20, v32
	s_wait_loadcnt 0x7
	v_lshrrev_b32_e32 v134, 16, v121
	v_pack_b32_f16 v21, v21, v109
	s_wait_loadcnt 0x6
	v_lshrrev_b32_e32 v135, 16, v122
	s_wait_loadcnt 0x5
	v_lshrrev_b32_e32 v136, 16, v123
	s_wait_loadcnt 0x4
	v_lshrrev_b32_e32 v137, 16, v124
	s_wait_loadcnt 0x3
	v_lshrrev_b32_e32 v138, 16, v125
	ds_store_2addr_b32 v63, v20, v21 offset1:80
	ds_load_2addr_b32 v[20:21], v63 offset0:160 offset1:240
	ds_load_2addr_b32 v[29:30], v24 offset0:64 offset1:144
	;; [unrolled: 1-line block ×7, first 2 shown]
	s_wait_loadcnt 0x2
	v_lshrrev_b32_e32 v139, 16, v126
	s_wait_loadcnt 0x1
	v_lshrrev_b32_e32 v140, 16, v127
	s_wait_loadcnt 0x0
	v_lshrrev_b32_e32 v141, 16, v27
	s_wait_dscnt 0x6
	v_lshrrev_b32_e32 v142, 16, v20
	v_lshrrev_b32_e32 v144, 16, v21
	s_wait_dscnt 0x5
	v_lshrrev_b32_e32 v146, 16, v29
	v_lshrrev_b32_e32 v148, 16, v30
	;; [unrolled: 3-line block ×6, first 2 shown]
	s_wait_dscnt 0x0
	v_lshrrev_b32_e32 v166, 16, v114
	v_mul_f16_e64 v143, v20, v128
	v_mul_f16_e64 v145, v21, v129
	v_lshrrev_b32_e32 v168, 16, v115
	v_mul_f16_e64 v128, v142, v128
	v_mul_f16_e64 v129, v144, v129
	;; [unrolled: 1-line block ×25, first 2 shown]
	v_fmac_f16_e64 v143, v142, v33
	v_fmac_f16_e64 v145, v144, v116
	v_mul_f16_e64 v141, v168, v141
	v_fma_f16 v20, v20, v33, -v128
	v_fma_f16 v21, v21, v116, -v129
	v_fmac_f16_e64 v147, v146, v117
	v_fmac_f16_e64 v149, v148, v118
	v_fma_f16 v29, v29, v117, -v130
	v_fma_f16 v30, v30, v118, -v131
	v_fmac_f16_e64 v151, v150, v119
	v_fmac_f16_e64 v153, v152, v120
	;; [unrolled: 4-line block ×4, first 2 shown]
	v_fmac_f16_e64 v163, v162, v125
	v_fmac_f16_e64 v165, v164, v126
	;; [unrolled: 1-line block ×3, first 2 shown]
	v_fma_f16 v109, v110, v123, -v136
	v_fma_f16 v110, v111, v124, -v137
	;; [unrolled: 1-line block ×5, first 2 shown]
	v_fmac_f16_e64 v169, v168, v27
	v_fma_f16 v27, v115, v27, -v141
	v_pack_b32_f16 v20, v20, v143
	v_pack_b32_f16 v21, v21, v145
	;; [unrolled: 1-line block ×14, first 2 shown]
	ds_store_2addr_b32 v63, v20, v21 offset0:160 offset1:240
	ds_store_2addr_b32 v24, v29, v30 offset0:64 offset1:144
	;; [unrolled: 1-line block ×7, first 2 shown]
	global_wb scope:SCOPE_SE
	s_wait_dscnt 0x0
	s_barrier_signal -1
	s_barrier_wait -1
	global_inv scope:SCOPE_SE
	ds_load_2addr_b32 v[20:21], v63 offset1:80
	ds_load_2addr_b32 v[29:30], v63 offset0:160 offset1:240
	ds_load_2addr_b32 v[31:32], v24 offset0:64 offset1:144
	;; [unrolled: 1-line block ×7, first 2 shown]
	v_add_nc_u32_e32 v27, 0x200, v63
	v_add_nc_u32_e32 v121, 0xa00, v63
	global_wb scope:SCOPE_SE
	s_wait_dscnt 0x0
	s_barrier_signal -1
	s_barrier_wait -1
	global_inv scope:SCOPE_SE
	v_pk_add_f16 v16, v20, v110 neg_lo:[0,1] neg_hi:[0,1]
	v_pk_add_f16 v23, v31, v112 neg_lo:[0,1] neg_hi:[0,1]
	;; [unrolled: 1-line block ×8, first 2 shown]
	v_pk_fma_f16 v20, v20, 2.0, v16 op_sel_hi:[1,0,1] neg_lo:[0,0,1] neg_hi:[0,0,1]
	v_pk_fma_f16 v31, v31, 2.0, v23 op_sel_hi:[1,0,1] neg_lo:[0,0,1] neg_hi:[0,0,1]
	;; [unrolled: 1-line block ×8, first 2 shown]
	v_lshrrev_b32_e32 v115, 16, v23
	v_lshrrev_b32_e32 v116, 16, v16
	;; [unrolled: 1-line block ×8, first 2 shown]
	v_pk_add_f16 v31, v20, v31 neg_lo:[0,1] neg_hi:[0,1]
	v_add_f16_e32 v115, v16, v115
	v_sub_f16_e32 v23, v116, v23
	v_pk_add_f16 v108, v29, v108 neg_lo:[0,1] neg_hi:[0,1]
	v_add_f16_e32 v117, v33, v117
	v_sub_f16_e32 v110, v118, v110
	;; [unrolled: 3-line block ×4, first 2 shown]
	v_pk_fma_f16 v20, v20, 2.0, v31 op_sel_hi:[1,0,1] neg_lo:[0,0,1] neg_hi:[0,0,1]
	v_fma_f16 v124, v16, 2.0, -v115
	v_fma_f16 v116, v116, 2.0, -v23
	v_pk_fma_f16 v16, v29, 2.0, v108 op_sel_hi:[1,0,1] neg_lo:[0,0,1] neg_hi:[0,0,1]
	v_fma_f16 v29, v33, 2.0, -v117
	v_fma_f16 v33, v118, 2.0, -v110
	;; [unrolled: 3-line block ×4, first 2 shown]
	v_fmamk_f16 v126, v117, 0x39a8, v115
	v_fmamk_f16 v127, v110, 0x39a8, v23
	v_fma_f16 v130, 0x39a8, v122, v119
	v_fma_f16 v131, 0x39a8, v114, v112
	v_lshrrev_b32_e32 v123, 16, v108
	v_lshrrev_b32_e32 v125, 16, v31
	;; [unrolled: 1-line block ×4, first 2 shown]
	v_pk_add_f16 v132, v20, v16 neg_lo:[0,1] neg_hi:[0,1]
	v_fma_f16 v133, 0xb9a8, v29, v124
	v_fma_f16 v134, 0xb9a8, v33, v116
	v_fmac_f16_e32 v126, 0x39a8, v110
	v_fmac_f16_e32 v127, 0xb9a8, v117
	v_pk_add_f16 v30, v21, v30 neg_lo:[0,1] neg_hi:[0,1]
	v_fmamk_f16 v110, v113, 0xb9a8, v111
	v_fmamk_f16 v117, v120, 0xb9a8, v118
	v_fmac_f16_e64 v130, 0x39a8, v114
	v_fmac_f16_e64 v131, 0xb9a8, v122
	v_add_f16_e32 v123, v31, v123
	v_sub_f16_e64 v135, v125, v108
	v_add_f16_e64 v128, v32, v128
	v_sub_f16_e64 v109, v129, v109
	v_pk_fma_f16 v20, v20, 2.0, v132 op_sel_hi:[1,0,1] neg_lo:[0,0,1] neg_hi:[0,0,1]
	v_fmac_f16_e64 v133, 0x39a8, v33
	v_fmac_f16_e64 v134, 0xb9a8, v29
	v_pk_fma_f16 v21, v21, 2.0, v30 op_sel_hi:[1,0,1] neg_lo:[0,0,1] neg_hi:[0,0,1]
	v_fmac_f16_e32 v110, 0x39a8, v120
	v_fmac_f16_e32 v117, 0xb9a8, v113
	v_fma_f16 v114, v115, 2.0, -v126
	v_fma_f16 v23, v23, 2.0, -v127
	;; [unrolled: 1-line block ×8, first 2 shown]
	v_fma_f16 v122, 0x39a8, v128, v123
	v_fma_f16 v125, 0x39a8, v109, v135
	v_fma_f16 v124, v124, 2.0, -v133
	v_fma_f16 v129, v116, 2.0, -v134
	;; [unrolled: 1-line block ×4, first 2 shown]
	v_pk_add_f16 v29, v20, v21 neg_lo:[0,1] neg_hi:[0,1]
	v_lshrrev_b32_e32 v119, 16, v30
	v_lshrrev_b32_e32 v120, 16, v132
	v_fma_f16 v137, 0xb61f, v115, v114
	v_fma_f16 v138, 0xb61f, v112, v23
	;; [unrolled: 1-line block ×6, first 2 shown]
	v_fmamk_f16 v21, v32, 0xb9a8, v31
	v_fma_f16 v136, 0xb9a8, v113, v33
	v_fmac_f16_e32 v122, 0x39a8, v109
	v_fmac_f16_e64 v125, 0xb9a8, v128
	v_pk_fma_f16 v109, v20, 2.0, v29 op_sel_hi:[1,0,1] neg_lo:[0,0,1] neg_hi:[0,0,1]
	v_fmamk_f16 v20, v111, 0xbb64, v124
	v_fma_f16 v128, 0xbb64, v118, v129
	v_add_f16_e64 v119, v132, v119
	v_sub_f16_e32 v30, v120, v30
	v_fmac_f16_e64 v137, 0x3b64, v112
	v_fmac_f16_e64 v138, 0xbb64, v115
	;; [unrolled: 1-line block ×6, first 2 shown]
	v_fmac_f16_e32 v21, 0x39a8, v113
	v_fmac_f16_e64 v136, 0xb9a8, v32
	v_fma_f16 v110, v123, 2.0, -v122
	v_fma_f16 v117, v135, 2.0, -v125
	v_fmac_f16_e32 v20, 0x361f, v118
	v_fmac_f16_e64 v128, 0xb61f, v111
	v_fma_f16 v32, v132, 2.0, -v119
	v_fma_f16 v112, v120, 2.0, -v30
	v_pack_b32_f16 v113, v119, v30
	v_fma_f16 v30, v114, 2.0, -v137
	v_fma_f16 v23, v23, 2.0, -v138
	;; [unrolled: 1-line block ×4, first 2 shown]
	v_pack_b32_f16 v115, v122, v125
	v_fma_f16 v118, v133, 2.0, -v139
	v_fma_f16 v122, v134, 2.0, -v140
	;; [unrolled: 1-line block ×4, first 2 shown]
	v_pack_b32_f16 v119, v110, v117
	v_pack_b32_f16 v31, v21, v136
	v_fma_f16 v21, v124, 2.0, -v20
	v_fma_f16 v110, v129, 2.0, -v128
	v_pack_b32_f16 v116, v16, v108
	v_pack_b32_f16 v114, v139, v140
	;; [unrolled: 1-line block ×10, first 2 shown]
	ds_store_b128 v22, v[113:116] offset:48
	ds_store_b128 v22, v[29:32] offset:32
	;; [unrolled: 1-line block ×3, first 2 shown]
	ds_store_b128 v22, v[109:112]
	global_wb scope:SCOPE_SE
	s_wait_dscnt 0x0
	s_barrier_signal -1
	s_barrier_wait -1
	global_inv scope:SCOPE_SE
	ds_load_2addr_b32 v[22:23], v63 offset1:80
	ds_load_2addr_b32 v[20:21], v27 offset0:32 offset1:128
	ds_load_2addr_b32 v[32:33], v26 offset1:80
	ds_load_2addr_b32 v[26:27], v121 offset0:32 offset1:128
	;; [unrolled: 2-line block ×3, first 2 shown]
	ds_load_2addr_b32 v[24:25], v25 offset0:80 offset1:160
	ds_load_b32 v109, v63 offset:4736
	s_and_saveexec_b32 s0, vcc_lo
	s_cbranch_execz .LBB0_7
; %bb.6:
	v_add_nc_u32_e32 v18, 0xc0, v63
	ds_load_2addr_stride64_b32 v[16:17], v18 offset0:3 offset1:7
	ds_load_2addr_stride64_b32 v[18:19], v18 offset0:11 offset1:15
	ds_load_b32 v81, v63 offset:5056
	s_wait_dscnt 0x2
	v_lshrrev_b32_e32 v108, 16, v16
	v_lshrrev_b32_e32 v85, 16, v17
	s_wait_dscnt 0x1
	v_lshrrev_b32_e32 v84, 16, v18
	v_lshrrev_b32_e32 v83, 16, v19
	s_wait_dscnt 0x0
	v_lshrrev_b32_e32 v82, 16, v81
.LBB0_7:
	s_wait_alu 0xfffe
	s_or_b32 exec_lo, exec_lo, s0
	s_wait_dscnt 0x6
	v_lshrrev_b32_e32 v111, 16, v21
	s_wait_dscnt 0x5
	v_lshrrev_b32_e32 v112, 16, v32
	;; [unrolled: 2-line block ×5, first 2 shown]
	v_mul_f16_e32 v125, v92, v111
	v_mul_f16_e32 v126, v92, v21
	;; [unrolled: 1-line block ×3, first 2 shown]
	v_mul_f16_e64 v128, v91, v32
	v_mul_f16_e64 v129, v89, v113
	v_lshrrev_b32_e32 v117, 16, v33
	s_wait_dscnt 0x1
	v_lshrrev_b32_e32 v118, 16, v24
	v_fmac_f16_e32 v125, v77, v21
	v_fma_f16 v21, v77, v111, -v126
	v_fmac_f16_e32 v127, v90, v32
	v_fma_f16 v32, v90, v112, -v128
	v_fmac_f16_e64 v129, v88, v27
	v_mul_f16_e32 v27, v89, v27
	v_mul_f16_e32 v111, v87, v114
	;; [unrolled: 1-line block ×4, first 2 shown]
	v_mul_f16_e64 v128, v92, v28
	v_lshrrev_b32_e32 v121, 16, v29
	v_lshrrev_b32_e32 v122, 16, v26
	v_fma_f16 v27, v88, v113, -v27
	v_fmac_f16_e32 v111, v86, v30
	v_fma_f16 v30, v86, v114, -v112
	v_fmac_f16_e32 v126, v77, v28
	v_fma_f16 v28, v77, v116, -v128
	v_mul_f16_e32 v112, v91, v117
	v_mul_f16_e32 v113, v91, v33
	;; [unrolled: 1-line block ×4, first 2 shown]
	v_lshrrev_b32_e32 v119, 16, v31
	v_lshrrev_b32_e32 v123, 16, v25
	v_fmac_f16_e32 v112, v90, v33
	v_fma_f16 v33, v90, v117, -v113
	v_fmac_f16_e32 v114, v88, v24
	v_fma_f16 v24, v88, v118, -v116
	v_mul_f16_e32 v113, v92, v121
	v_mul_f16_e32 v92, v92, v29
	;; [unrolled: 1-line block ×4, first 2 shown]
	v_mul_f16_e64 v128, v87, v119
	v_fmac_f16_e32 v113, v77, v29
	v_fma_f16 v29, v77, v121, -v92
	v_fmac_f16_e32 v116, v90, v26
	v_fma_f16 v26, v90, v122, -v91
	v_add_f16_e64 v77, v127, v129
	v_mul_f16_e32 v90, v89, v123
	v_mul_f16_e32 v89, v89, v25
	v_add_f16_e32 v92, v22, v125
	v_lshrrev_b32_e32 v110, 16, v22
	s_wait_dscnt 0x0
	v_lshrrev_b32_e32 v124, 16, v109
	v_fmac_f16_e64 v128, v86, v31
	v_mul_f16_e32 v31, v87, v31
	v_fma_f16 v77, -0.5, v77, v22
	v_sub_f16_e32 v117, v21, v30
	v_fmac_f16_e32 v90, v88, v25
	v_fma_f16 v25, v88, v123, -v89
	v_add_f16_e32 v88, v92, v127
	v_add_f16_e32 v121, v125, v111
	v_fma_f16 v31, v86, v119, -v31
	v_mul_f16_e32 v91, v87, v124
	v_fmamk_f16 v89, v117, 0xbb9c, v77
	v_sub_f16_e32 v92, v32, v27
	v_sub_f16_e32 v118, v125, v127
	v_sub_f16_e64 v119, v111, v129
	v_mul_f16_e32 v87, v87, v109
	v_add_f16_e64 v88, v88, v129
	v_fma_f16 v22, -0.5, v121, v22
	v_fmac_f16_e32 v77, 0x3b9c, v117
	v_add_f16_e32 v121, v110, v21
	v_fmac_f16_e32 v91, v86, v109
	v_fmac_f16_e32 v89, 0xb8b4, v92
	v_add_f16_e32 v109, v118, v119
	v_fma_f16 v86, v86, v124, -v87
	v_add_f16_e32 v87, v88, v111
	v_fmamk_f16 v88, v92, 0x3b9c, v22
	v_sub_f16_e32 v118, v127, v125
	v_sub_f16_e64 v119, v129, v111
	v_fmac_f16_e32 v77, 0x38b4, v92
	v_add_f16_e32 v122, v32, v27
	v_fmac_f16_e32 v22, 0xbb9c, v92
	v_add_f16_e32 v92, v121, v32
	;; [unrolled: 2-line block ×3, first 2 shown]
	v_fma_f16 v119, -0.5, v122, v110
	v_sub_f16_e32 v111, v125, v111
	v_fmac_f16_e32 v22, 0x38b4, v117
	v_add_f16_e32 v92, v92, v27
	v_add_f16_e32 v117, v21, v30
	v_sub_f16_e32 v122, v21, v32
	v_sub_f16_e32 v123, v30, v27
	;; [unrolled: 1-line block ×4, first 2 shown]
	v_fmac_f16_e32 v89, 0x34f2, v109
	v_fmac_f16_e32 v77, 0x34f2, v109
	v_fmamk_f16 v109, v111, 0x3b9c, v119
	v_sub_f16_e64 v121, v127, v129
	v_fmac_f16_e32 v110, -0.5, v117
	v_add_f16_e32 v92, v92, v30
	v_fmac_f16_e32 v119, 0xbb9c, v111
	v_add_f16_e32 v30, v112, v114
	v_add_f16_e32 v21, v21, v27
	;; [unrolled: 1-line block ×3, first 2 shown]
	v_lshrrev_b32_e32 v115, 16, v23
	v_fmac_f16_e32 v88, 0x34f2, v118
	v_fmac_f16_e32 v22, 0x34f2, v118
	;; [unrolled: 1-line block ×3, first 2 shown]
	v_add_f16_e32 v117, v122, v123
	v_fmamk_f16 v118, v121, 0xbb9c, v110
	v_fmac_f16_e32 v119, 0xb8b4, v121
	v_fma_f16 v30, -0.5, v30, v23
	v_sub_f16_e32 v32, v28, v31
	v_fmac_f16_e32 v110, 0x3b9c, v121
	v_add_f16_e32 v27, v27, v112
	v_add_f16_e64 v124, v126, v128
	v_fmac_f16_e32 v109, 0x34f2, v117
	v_fmac_f16_e32 v118, 0x38b4, v111
	;; [unrolled: 1-line block ×3, first 2 shown]
	v_fmamk_f16 v117, v32, 0xbb9c, v30
	v_sub_f16_e32 v121, v33, v24
	v_sub_f16_e32 v122, v126, v112
	v_sub_f16_e64 v123, v128, v114
	v_fmac_f16_e32 v110, 0xb8b4, v111
	v_add_f16_e32 v27, v27, v114
	v_fmac_f16_e32 v23, -0.5, v124
	v_fmac_f16_e32 v30, 0x3b9c, v32
	v_add_f16_e32 v124, v115, v28
	v_fmac_f16_e32 v118, 0x34f2, v21
	v_fmac_f16_e32 v117, 0xb8b4, v121
	v_add_f16_e32 v111, v122, v123
	v_fmac_f16_e32 v110, 0x34f2, v21
	v_add_f16_e64 v21, v27, v128
	v_fmamk_f16 v27, v121, 0x3b9c, v23
	v_sub_f16_e32 v122, v112, v126
	v_sub_f16_e64 v123, v114, v128
	v_fmac_f16_e32 v30, 0x38b4, v121
	v_add_f16_e32 v125, v33, v24
	v_fmac_f16_e32 v23, 0xbb9c, v121
	v_add_f16_e32 v121, v124, v33
	;; [unrolled: 2-line block ×3, first 2 shown]
	v_fma_f16 v123, -0.5, v125, v115
	v_sub_f16_e64 v124, v126, v128
	v_fmac_f16_e32 v23, 0x38b4, v32
	v_add_f16_e32 v32, v121, v24
	v_add_f16_e32 v121, v28, v31
	v_fmac_f16_e32 v117, 0x34f2, v111
	v_fmac_f16_e32 v30, 0x34f2, v111
	v_fmamk_f16 v111, v124, 0x3b9c, v123
	v_sub_f16_e32 v112, v112, v114
	v_sub_f16_e32 v114, v28, v33
	;; [unrolled: 1-line block ×3, first 2 shown]
	v_fmac_f16_e32 v115, -0.5, v121
	v_add_f16_e32 v32, v32, v31
	v_fmac_f16_e32 v123, 0xbb9c, v124
	v_sub_f16_e32 v28, v33, v28
	v_sub_f16_e32 v24, v24, v31
	v_add_f16_e32 v31, v116, v90
	v_fmac_f16_e32 v111, 0x38b4, v112
	v_add_f16_e32 v114, v114, v125
	v_fmamk_f16 v121, v112, 0xbb9c, v115
	v_fmac_f16_e32 v123, 0xb8b4, v112
	v_add_f16_e32 v24, v28, v24
	v_fmac_f16_e32 v115, 0x3b9c, v112
	v_add_f16_e32 v28, v20, v113
	v_fma_f16 v31, -0.5, v31, v20
	v_sub_f16_e32 v33, v29, v86
	v_fmac_f16_e32 v27, 0x34f2, v122
	v_fmac_f16_e32 v23, 0x34f2, v122
	;; [unrolled: 1-line block ×6, first 2 shown]
	v_add_f16_e32 v28, v28, v116
	v_fmamk_f16 v112, v33, 0xbb9c, v31
	v_sub_f16_e32 v114, v26, v25
	v_sub_f16_e32 v122, v113, v116
	;; [unrolled: 1-line block ×3, first 2 shown]
	v_fmac_f16_e32 v31, 0x3b9c, v33
	v_add_f16_e32 v125, v113, v91
	v_lshrrev_b32_e32 v120, 16, v20
	v_add_f16_e32 v28, v28, v90
	v_fmac_f16_e32 v112, 0xb8b4, v114
	v_add_f16_e32 v122, v122, v124
	v_fmac_f16_e32 v31, 0x38b4, v114
	v_fmac_f16_e32 v20, -0.5, v125
	v_sub_f16_e32 v124, v116, v113
	v_sub_f16_e32 v125, v90, v91
	v_fmac_f16_e32 v121, 0x34f2, v24
	v_fmac_f16_e32 v115, 0x34f2, v24
	v_add_f16_e32 v24, v28, v91
	v_fmac_f16_e32 v112, 0x34f2, v122
	v_fmac_f16_e32 v31, 0x34f2, v122
	v_fmamk_f16 v28, v114, 0x3b9c, v20
	v_add_f16_e32 v122, v26, v25
	v_fmac_f16_e32 v20, 0xbb9c, v114
	v_add_f16_e32 v114, v120, v29
	v_sub_f16_e32 v91, v113, v91
	v_add_f16_e32 v113, v124, v125
	v_add_f16_e32 v124, v29, v86
	v_fma_f16 v122, -0.5, v122, v120
	v_fmac_f16_e32 v28, 0xb8b4, v33
	v_fmac_f16_e32 v20, 0x38b4, v33
	v_add_f16_e32 v33, v114, v26
	v_sub_f16_e32 v90, v116, v90
	v_fmac_f16_e32 v120, -0.5, v124
	v_fmamk_f16 v114, v91, 0x3b9c, v122
	v_fmac_f16_e32 v28, 0x34f2, v113
	v_fmac_f16_e32 v20, 0x34f2, v113
	v_add_f16_e32 v33, v33, v25
	v_sub_f16_e32 v113, v29, v26
	v_sub_f16_e32 v116, v86, v25
	v_fmac_f16_e32 v122, 0xbb9c, v91
	v_fmamk_f16 v124, v90, 0xbb9c, v120
	v_sub_f16_e32 v26, v26, v29
	v_sub_f16_e32 v25, v25, v86
	v_fmac_f16_e32 v120, 0x3b9c, v90
	v_fmac_f16_e32 v114, 0x38b4, v90
	v_add_f16_e32 v29, v113, v116
	v_fmac_f16_e32 v122, 0xb8b4, v90
	v_fmac_f16_e32 v124, 0x38b4, v91
	v_add_f16_e32 v25, v26, v25
	v_fmac_f16_e32 v120, 0xb8b4, v91
	v_fmac_f16_e32 v114, 0x34f2, v29
	;; [unrolled: 1-line block ×3, first 2 shown]
	v_pack_b32_f16 v29, v89, v109
	v_fmac_f16_e32 v124, 0x34f2, v25
	v_fmac_f16_e32 v120, 0x34f2, v25
	v_pack_b32_f16 v25, v87, v92
	v_add_f16_e32 v26, v33, v86
	v_pack_b32_f16 v33, v88, v118
	v_pack_b32_f16 v22, v22, v110
	;; [unrolled: 1-line block ×5, first 2 shown]
	global_wb scope:SCOPE_SE
	s_barrier_signal -1
	s_barrier_wait -1
	global_inv scope:SCOPE_SE
	ds_store_2addr_b32 v80, v25, v29 offset1:16
	ds_store_2addr_b32 v80, v33, v22 offset0:32 offset1:48
	ds_store_b32 v80, v77 offset:256
	ds_store_2addr_b32 v79, v21, v32 offset1:16
	v_pack_b32_f16 v21, v27, v121
	v_pack_b32_f16 v22, v23, v115
	;; [unrolled: 1-line block ×8, first 2 shown]
	ds_store_2addr_b32 v79, v21, v22 offset0:32 offset1:48
	ds_store_b32 v79, v23 offset:256
	ds_store_2addr_b32 v78, v24, v25 offset1:16
	ds_store_2addr_b32 v78, v26, v20 offset0:32 offset1:48
	ds_store_b32 v78, v27 offset:256
	s_and_saveexec_b32 s0, vcc_lo
	s_cbranch_execz .LBB0_9
; %bb.8:
	v_mul_f16_e32 v20, v73, v17
	v_mul_f16_e32 v21, v76, v81
	;; [unrolled: 1-line block ×5, first 2 shown]
	v_fma_f16 v20, v69, v85, -v20
	v_mul_f16_e32 v26, v75, v83
	v_fma_f16 v21, v72, v82, -v21
	v_mul_f16_e32 v24, v73, v85
	v_fma_f16 v23, v70, v84, -v23
	v_mul_f16_e32 v27, v76, v82
	v_fma_f16 v22, v71, v83, -v22
	v_fmac_f16_e32 v25, v70, v18
	v_fmac_f16_e32 v26, v71, v19
	v_add_f16_e32 v19, v20, v21
	v_fmac_f16_e32 v24, v69, v17
	v_fmac_f16_e32 v27, v72, v81
	v_add_f16_e32 v29, v23, v22
	v_sub_f16_e32 v28, v25, v26
	v_fma_f16 v19, -0.5, v19, v108
	v_add_f16_e32 v17, v20, v108
	v_sub_f16_e32 v30, v23, v20
	v_sub_f16_e32 v31, v22, v21
	;; [unrolled: 1-line block ×3, first 2 shown]
	v_fmac_f16_e32 v108, -0.5, v29
	v_fmamk_f16 v29, v28, 0x3b9c, v19
	v_fmac_f16_e32 v19, 0xbb9c, v28
	v_add_f16_e32 v17, v23, v17
	v_add_f16_e32 v30, v30, v31
	v_fmamk_f16 v70, v32, 0xbb9c, v108
	v_fmac_f16_e32 v29, 0xb8b4, v32
	v_fmac_f16_e32 v19, 0x38b4, v32
	v_add_f16_e32 v17, v22, v17
	v_fmac_f16_e32 v108, 0x3b9c, v32
	v_add_f16_e32 v32, v25, v26
	v_fmac_f16_e32 v29, 0x34f2, v30
	v_fmac_f16_e32 v19, 0x34f2, v30
	v_add_f16_e32 v30, v24, v27
	v_add_f16_e32 v18, v24, v16
	;; [unrolled: 1-line block ×3, first 2 shown]
	v_sub_f16_e32 v33, v20, v23
	v_sub_f16_e32 v69, v21, v22
	v_sub_f16_e32 v20, v20, v21
	v_fma_f16 v21, -0.5, v30, v16
	v_fmac_f16_e32 v16, -0.5, v32
	v_add_f16_e32 v18, v25, v18
	v_sub_f16_e32 v22, v23, v22
	v_fmac_f16_e32 v70, 0xb8b4, v28
	v_fmac_f16_e32 v108, 0x38b4, v28
	v_sub_f16_e32 v28, v25, v24
	v_sub_f16_e32 v23, v24, v25
	;; [unrolled: 1-line block ×3, first 2 shown]
	v_fmamk_f16 v25, v20, 0x3b9c, v16
	v_fmac_f16_e32 v16, 0xbb9c, v20
	v_add_f16_e32 v18, v26, v18
	v_sub_f16_e32 v30, v26, v27
	v_fmamk_f16 v26, v22, 0xbb9c, v21
	v_fmac_f16_e32 v21, 0x3b9c, v22
	v_add_f16_e32 v31, v33, v69
	v_add_f16_e32 v23, v23, v24
	v_fmac_f16_e32 v16, 0xb8b4, v22
	v_add_f16_e32 v18, v27, v18
	v_add_f16_e32 v27, v28, v30
	v_fmac_f16_e32 v26, 0x38b4, v20
	v_fmac_f16_e32 v21, 0xb8b4, v20
	;; [unrolled: 1-line block ×9, first 2 shown]
	v_pack_b32_f16 v17, v18, v17
	v_pack_b32_f16 v16, v16, v108
	v_add_nc_u32_e32 v18, 0x1000, v63
	v_pack_b32_f16 v19, v21, v19
	v_pack_b32_f16 v20, v26, v29
	;; [unrolled: 1-line block ×3, first 2 shown]
	ds_store_2addr_b32 v18, v17, v16 offset0:176 offset1:192
	ds_store_2addr_b32 v18, v19, v20 offset0:208 offset1:224
	ds_store_b32 v63, v21 offset:5056
.LBB0_9:
	s_wait_alu 0xfffe
	s_or_b32 exec_lo, exec_lo, s0
	global_wb scope:SCOPE_SE
	s_wait_dscnt 0x0
	s_barrier_signal -1
	s_barrier_wait -1
	global_inv scope:SCOPE_SE
	ds_load_2addr_b32 v[22:23], v63 offset1:80
	ds_load_2addr_b32 v[24:25], v63 offset0:160 offset1:240
	v_add_nc_u32_e32 v21, 0x400, v63
	v_add_nc_u32_e32 v20, 0x600, v63
	;; [unrolled: 1-line block ×5, first 2 shown]
	ds_load_2addr_b32 v[26:27], v21 offset0:64 offset1:144
	ds_load_2addr_b32 v[28:29], v20 offset0:96 offset1:176
	;; [unrolled: 1-line block ×4, first 2 shown]
	v_add_nc_u32_e32 v16, 0x1000, v63
	ds_load_2addr_b32 v[69:70], v17 offset0:64 offset1:144
	ds_load_2addr_b32 v[71:72], v16 offset0:96 offset1:176
	s_mov_b32 s8, 0x9999999a
	s_mov_b32 s9, 0x3f499999
	s_wait_dscnt 0x7
	v_lshrrev_b32_e32 v74, 16, v23
	s_wait_dscnt 0x6
	v_lshrrev_b32_e32 v75, 16, v24
	v_lshrrev_b32_e32 v76, 16, v25
	v_mul_f16_e32 v90, v107, v23
	v_mul_f16_e32 v91, v106, v24
	;; [unrolled: 1-line block ×3, first 2 shown]
	v_lshrrev_b32_e32 v73, 16, v22
	s_wait_dscnt 0x5
	v_lshrrev_b32_e32 v77, 16, v26
	v_mul_f16_e32 v92, v105, v76
	v_lshrrev_b32_e32 v78, 16, v27
	v_fmac_f16_e32 v86, v4, v23
	v_mul_f16_e32 v23, v106, v75
	s_wait_dscnt 0x4
	v_lshrrev_b32_e32 v79, 16, v28
	v_fma_f16 v4, v4, v74, -v90
	v_mul_f16_e32 v74, v105, v25
	v_fmac_f16_e32 v92, v6, v25
	v_fmac_f16_e32 v23, v5, v24
	v_mul_f16_e32 v24, v104, v77
	v_mul_f16_e32 v25, v104, v26
	v_lshrrev_b32_e32 v80, 16, v29
	s_wait_dscnt 0x3
	v_lshrrev_b32_e32 v81, 16, v30
	v_fma_f16 v5, v5, v75, -v91
	v_fma_f16 v6, v6, v76, -v74
	v_mul_f16_e32 v74, v103, v78
	v_mul_f16_e32 v75, v103, v27
	v_fmac_f16_e32 v24, v7, v26
	v_mul_f16_e32 v26, v102, v79
	v_fma_f16 v7, v7, v77, -v25
	v_mul_f16_e32 v25, v102, v28
	v_lshrrev_b32_e32 v82, 16, v31
	v_fmac_f16_e32 v74, v8, v27
	v_fma_f16 v8, v8, v78, -v75
	v_fmac_f16_e32 v26, v9, v28
	v_mul_f16_e32 v27, v101, v80
	v_mul_f16_e32 v28, v101, v29
	;; [unrolled: 1-line block ×3, first 2 shown]
	v_fma_f16 v9, v9, v79, -v25
	v_mul_f16_e32 v25, v100, v30
	s_wait_dscnt 0x2
	v_lshrrev_b32_e32 v83, 16, v32
	v_lshrrev_b32_e32 v84, 16, v33
	v_fmac_f16_e32 v27, v10, v29
	v_fma_f16 v10, v10, v80, -v28
	v_fmac_f16_e32 v75, v11, v30
	v_mul_f16_e32 v28, v99, v82
	v_fma_f16 v11, v11, v81, -v25
	v_mul_f16_e32 v25, v99, v31
	s_wait_dscnt 0x1
	v_lshrrev_b32_e32 v85, 16, v69
	v_lshrrev_b32_e32 v87, 16, v70
	v_mul_f16_e32 v29, v98, v83
	v_mul_f16_e32 v30, v98, v32
	v_fmac_f16_e32 v28, v0, v31
	v_mul_f16_e32 v31, v97, v84
	v_fma_f16 v0, v0, v82, -v25
	v_mul_f16_e32 v25, v97, v33
	s_wait_dscnt 0x0
	v_lshrrev_b32_e32 v88, 16, v71
	v_fmac_f16_e32 v29, v1, v32
	v_fma_f16 v1, v1, v83, -v30
	v_fmac_f16_e32 v31, v2, v33
	v_mul_f16_e32 v30, v96, v85
	v_mul_f16_e32 v32, v96, v69
	;; [unrolled: 1-line block ×3, first 2 shown]
	v_fma_f16 v2, v2, v84, -v25
	v_mul_f16_e32 v25, v95, v70
	v_fmac_f16_e32 v30, v3, v69
	v_fma_f16 v3, v3, v85, -v32
	v_fmac_f16_e32 v33, v12, v70
	v_mul_f16_e32 v32, v94, v88
	v_fma_f16 v12, v12, v87, -v25
	v_mul_f16_e32 v25, v94, v71
	v_lshrrev_b32_e32 v89, 16, v72
	v_sub_f16_e32 v11, v73, v11
	v_fmac_f16_e32 v32, v13, v71
	v_sub_f16_e32 v71, v22, v75
	v_fma_f16 v13, v13, v88, -v25
	v_sub_f16_e32 v25, v24, v30
	v_sub_f16_e32 v3, v7, v3
	;; [unrolled: 1-line block ×6, first 2 shown]
	v_mul_f16_e32 v69, v93, v89
	v_mul_f16_e32 v70, v93, v72
	v_fma_f16 v22, v22, 2.0, -v71
	v_fma_f16 v30, v73, 2.0, -v11
	;; [unrolled: 1-line block ×8, first 2 shown]
	v_add_f16_e32 v3, v71, v3
	v_add_f16_e32 v13, v29, v13
	v_fmac_f16_e32 v69, v14, v72
	v_fma_f16 v14, v14, v89, -v70
	v_sub_f16_e32 v33, v74, v33
	v_sub_f16_e32 v24, v22, v24
	;; [unrolled: 1-line block ×4, first 2 shown]
	v_fma_f16 v71, v71, 2.0, -v3
	v_sub_f16_e32 v9, v5, v9
	v_sub_f16_e32 v32, v1, v32
	v_fma_f16 v29, v29, 2.0, -v13
	v_sub_f16_e32 v28, v86, v28
	v_sub_f16_e32 v0, v4, v0
	;; [unrolled: 1-line block ×3, first 2 shown]
	v_fma_f16 v72, v74, 2.0, -v33
	v_sub_f16_e32 v31, v92, v31
	v_sub_f16_e32 v2, v6, v2
	;; [unrolled: 1-line block ×5, first 2 shown]
	v_fma_f16 v22, v22, 2.0, -v24
	v_fma_f16 v30, v30, 2.0, -v7
	;; [unrolled: 1-line block ×5, first 2 shown]
	v_fmamk_f16 v74, v29, 0xb9a8, v71
	v_fma_f16 v70, v86, 2.0, -v28
	v_fma_f16 v4, v4, 2.0, -v0
	;; [unrolled: 1-line block ×8, first 2 shown]
	v_add_f16_e32 v12, v28, v12
	v_add_f16_e32 v14, v31, v14
	v_sub_f16_e32 v23, v22, v23
	v_sub_f16_e32 v5, v30, v5
	v_fmac_f16_e32 v74, 0x39a8, v1
	v_sub_f16_e32 v72, v70, v72
	v_sub_f16_e32 v8, v4, v8
	;; [unrolled: 1-line block ×5, first 2 shown]
	v_fma_f16 v28, v28, 2.0, -v12
	v_sub_f16_e32 v69, v2, v69
	v_fma_f16 v31, v31, 2.0, -v14
	v_fmamk_f16 v75, v1, 0xb9a8, v11
	v_fma_f16 v1, v22, 2.0, -v23
	v_fma_f16 v22, v30, 2.0, -v5
	;; [unrolled: 1-line block ×3, first 2 shown]
	v_fmamk_f16 v71, v32, 0x39a8, v25
	v_fma_f16 v70, v70, 2.0, -v72
	v_fma_f16 v4, v4, 2.0, -v8
	;; [unrolled: 1-line block ×6, first 2 shown]
	v_fmac_f16_e32 v75, 0xb9a8, v29
	v_fmamk_f16 v29, v13, 0x39a8, v3
	v_fmac_f16_e32 v71, 0xb9a8, v13
	v_fmamk_f16 v13, v31, 0xb9a8, v28
	v_sub_f16_e32 v6, v4, v6
	v_add_f16_e32 v9, v24, v9
	v_fmac_f16_e32 v29, 0x39a8, v32
	v_sub_f16_e32 v32, v70, v73
	v_fmamk_f16 v73, v2, 0xb9a8, v0
	v_fmac_f16_e32 v13, 0x39a8, v2
	v_fma_f16 v4, v4, 2.0, -v6
	v_add_f16_e32 v10, v72, v10
	v_fma_f16 v2, v70, 2.0, -v32
	v_fmac_f16_e32 v73, 0xb9a8, v31
	v_fmamk_f16 v31, v14, 0x39a8, v12
	v_fma_f16 v28, v28, 2.0, -v13
	v_fmamk_f16 v70, v69, 0x39a8, v33
	v_sub_f16_e32 v26, v7, v26
	v_fma_f16 v11, v11, 2.0, -v75
	v_fma_f16 v24, v24, 2.0, -v9
	v_sub_f16_e32 v27, v8, v27
	v_fmac_f16_e32 v31, 0x39a8, v69
	v_fma_f16 v0, v0, 2.0, -v73
	v_fma_f16 v69, v72, 2.0, -v10
	v_fmac_f16_e32 v70, 0xb9a8, v14
	v_fmamk_f16 v14, v28, 0xbb64, v30
	v_sub_f16_e32 v4, v22, v4
	v_fma_f16 v7, v7, 2.0, -v26
	v_fma_f16 v25, v25, 2.0, -v71
	;; [unrolled: 1-line block ×4, first 2 shown]
	v_fmamk_f16 v72, v0, 0xbb64, v11
	v_fmac_f16_e32 v14, 0x361f, v0
	v_fma_f16 v0, v22, 2.0, -v4
	v_fmamk_f16 v22, v69, 0xb9a8, v24
	v_fma_f16 v3, v3, 2.0, -v29
	v_fma_f16 v12, v12, 2.0, -v31
	v_fmac_f16_e32 v72, 0xb61f, v28
	v_fmamk_f16 v28, v8, 0xb9a8, v7
	v_fmac_f16_e32 v22, 0x39a8, v8
	v_fmamk_f16 v8, v33, 0xb61f, v25
	v_fmamk_f16 v76, v12, 0xb61f, v3
	v_sub_f16_e32 v2, v1, v2
	v_fmac_f16_e32 v28, 0xb9a8, v69
	v_fmamk_f16 v69, v10, 0x39a8, v9
	v_fmac_f16_e32 v8, 0xbb64, v12
	v_fmamk_f16 v12, v13, 0x361f, v74
	;; [unrolled: 2-line block ×3, first 2 shown]
	v_add_f16_e32 v6, v23, v6
	v_sub_f16_e32 v32, v5, v32
	v_fmac_f16_e32 v12, 0x3b64, v73
	v_fmamk_f16 v73, v27, 0x39a8, v26
	v_fmac_f16_e32 v33, 0xbb64, v13
	v_fmac_f16_e32 v69, 0x39a8, v27
	v_fmamk_f16 v27, v70, 0x3b64, v71
	v_fma_f16 v1, v1, 2.0, -v2
	v_fmac_f16_e32 v73, 0xb9a8, v10
	v_fmamk_f16 v10, v31, 0x3b64, v29
	v_fma_f16 v30, v30, 2.0, -v14
	v_fma_f16 v11, v11, 2.0, -v72
	;; [unrolled: 1-line block ×6, first 2 shown]
	v_fmac_f16_e32 v10, 0x361f, v70
	v_fmac_f16_e32 v27, 0xb61f, v31
	v_fma_f16 v24, v24, 2.0, -v22
	v_fma_f16 v7, v7, 2.0, -v28
	;; [unrolled: 1-line block ×6, first 2 shown]
	v_pack_b32_f16 v0, v1, v0
	v_pack_b32_f16 v1, v30, v11
	;; [unrolled: 1-line block ×4, first 2 shown]
	v_fma_f16 v13, v29, 2.0, -v10
	v_fma_f16 v23, v71, 2.0, -v27
	v_pack_b32_f16 v7, v24, v7
	v_pack_b32_f16 v3, v3, v25
	ds_store_2addr_b32 v63, v0, v1 offset1:80
	ds_store_2addr_b32 v63, v7, v3 offset0:160 offset1:240
	ds_store_2addr_b32 v21, v5, v11 offset0:64 offset1:144
	v_pack_b32_f16 v0, v9, v26
	v_pack_b32_f16 v1, v13, v23
	;; [unrolled: 1-line block ×10, first 2 shown]
	ds_store_2addr_b32 v20, v0, v1 offset0:96 offset1:176
	ds_store_2addr_b32 v19, v2, v3 offset0:128 offset1:208
	;; [unrolled: 1-line block ×5, first 2 shown]
	global_wb scope:SCOPE_SE
	s_wait_dscnt 0x0
	s_barrier_signal -1
	s_barrier_wait -1
	global_inv scope:SCOPE_SE
	ds_load_2addr_b32 v[0:1], v63 offset1:80
	s_wait_dscnt 0x0
	v_lshrrev_b32_e32 v4, 16, v0
	s_delay_alu instid0(VALU_DEP_1) | instskip(NEXT) | instid1(VALU_DEP_1)
	v_mul_f16_e32 v2, v68, v4
	v_fmac_f16_e32 v2, v66, v0
	v_mul_f16_e32 v0, v68, v0
	s_delay_alu instid0(VALU_DEP_2) | instskip(NEXT) | instid1(VALU_DEP_2)
	v_cvt_f32_f16_e32 v2, v2
	v_fma_f16 v0, v66, v4, -v0
	s_delay_alu instid0(VALU_DEP_2) | instskip(NEXT) | instid1(VALU_DEP_2)
	v_cvt_f64_f32_e32 v[2:3], v2
	v_cvt_f32_f16_e32 v0, v0
	s_delay_alu instid0(VALU_DEP_1) | instskip(SKIP_1) | instid1(VALU_DEP_1)
	v_cvt_f64_f32_e32 v[4:5], v0
	v_lshrrev_b32_e32 v0, 16, v1
	v_mul_f16_e32 v6, v67, v0
	s_delay_alu instid0(VALU_DEP_1) | instskip(SKIP_1) | instid1(VALU_DEP_2)
	v_fmac_f16_e32 v6, v64, v1
	v_mul_f16_e32 v1, v67, v1
	v_cvt_f32_f16_e32 v6, v6
	s_delay_alu instid0(VALU_DEP_2) | instskip(SKIP_3) | instid1(VALU_DEP_2)
	v_fma_f16 v0, v64, v0, -v1
	s_wait_alu 0xfffe
	v_mul_f64_e32 v[2:3], s[8:9], v[2:3]
	v_mul_f64_e32 v[4:5], s[8:9], v[4:5]
	v_and_or_b32 v2, 0x1ff, v3, v2
	v_lshrrev_b32_e32 v7, 8, v3
	v_bfe_u32 v8, v3, 20, 11
	s_delay_alu instid0(VALU_DEP_3) | instskip(SKIP_1) | instid1(VALU_DEP_3)
	v_cmp_ne_u32_e32 vcc_lo, 0, v2
	v_and_or_b32 v4, 0x1ff, v5, v4
	v_sub_nc_u32_e32 v9, 0x3f1, v8
	v_add_nc_u32_e32 v12, 0xfffffc10, v8
	v_lshrrev_b32_e32 v8, 8, v5
	s_wait_alu 0xfffd
	v_cndmask_b32_e64 v2, 0, 1, vcc_lo
	v_bfe_u32 v13, v5, 20, 11
	v_med3_i32 v9, v9, 0, 13
	s_delay_alu instid0(VALU_DEP_3) | instskip(SKIP_1) | instid1(VALU_DEP_2)
	v_and_or_b32 v2, 0xffe, v7, v2
	v_cvt_f64_f32_e32 v[6:7], v6
	v_or_b32_e32 v10, 0x1000, v2
	s_delay_alu instid0(VALU_DEP_1) | instskip(NEXT) | instid1(VALU_DEP_1)
	v_lshrrev_b32_e32 v11, v9, v10
	v_lshlrev_b32_e32 v9, v9, v11
	s_delay_alu instid0(VALU_DEP_1) | instskip(SKIP_4) | instid1(VALU_DEP_2)
	v_cmp_ne_u32_e32 vcc_lo, v9, v10
	v_lshl_or_b32 v10, v12, 12, v2
	s_wait_alu 0xfffd
	v_cndmask_b32_e64 v9, 0, 1, vcc_lo
	v_cmp_ne_u32_e32 vcc_lo, 0, v4
	v_or_b32_e32 v9, v11, v9
	s_wait_alu 0xfffd
	v_cndmask_b32_e64 v4, 0, 1, vcc_lo
	v_cmp_gt_i32_e32 vcc_lo, 1, v12
	s_delay_alu instid0(VALU_DEP_2)
	v_and_or_b32 v4, 0xffe, v8, v4
	v_sub_nc_u32_e32 v8, 0x3f1, v13
	s_wait_alu 0xfffd
	v_cndmask_b32_e32 v14, v10, v9, vcc_lo
	v_mul_f64_e32 v[6:7], s[8:9], v[6:7]
	ds_load_2addr_b32 v[10:11], v63 offset0:160 offset1:240
	v_or_b32_e32 v22, 0x1000, v4
	v_med3_i32 v23, v8, 0, 13
	v_and_b32_e32 v24, 7, v14
	v_cvt_f32_f16_e32 v8, v0
	v_lshrrev_b32_e32 v14, 2, v14
	v_mad_co_u64_u32 v[0:1], null, s6, v15, 0
	v_lshrrev_b32_e32 v25, v23, v22
	v_cmp_lt_i32_e32 vcc_lo, 5, v24
	v_cmp_eq_u32_e64 s0, 3, v24
	v_cvt_f64_f32_e32 v[8:9], v8
	s_delay_alu instid0(VALU_DEP_4) | instskip(NEXT) | instid1(VALU_DEP_3)
	v_lshlrev_b32_e32 v23, v23, v25
	s_or_b32 vcc_lo, s0, vcc_lo
	s_delay_alu instid0(VALU_DEP_1)
	v_cmp_ne_u32_e64 s1, v23, v22
	v_add_nc_u32_e32 v23, 0xfffffc10, v13
	s_wait_alu 0xfffe
	v_add_co_ci_u32_e32 v13, vcc_lo, 0, v14, vcc_lo
	v_cmp_ne_u32_e32 vcc_lo, 0, v2
	s_wait_alu 0xf1ff
	v_cndmask_b32_e64 v22, 0, 1, s1
	s_wait_dscnt 0x0
	v_lshrrev_b32_e32 v24, 16, v10
	s_wait_alu 0xfffd
	v_cndmask_b32_e64 v2, 0, 1, vcc_lo
	v_cmp_gt_i32_e32 vcc_lo, 31, v12
	v_or_b32_e32 v14, v25, v22
	v_lshl_or_b32 v22, v23, 12, v4
	v_lshrrev_b32_e32 v25, 16, v3
	s_wait_alu 0xfffd
	v_cndmask_b32_e32 v13, 0x7c00, v13, vcc_lo
	v_cmp_gt_i32_e32 vcc_lo, 1, v23
	v_and_or_b32 v6, 0x1ff, v7, v6
	v_bfe_u32 v26, v7, 20, 11
	s_wait_alu 0xfffd
	v_cndmask_b32_e32 v14, v22, v14, vcc_lo
	v_lshl_or_b32 v22, v2, 9, 0x7c00
	v_mad_co_u64_u32 v[1:2], null, s7, v15, v[1:2]
	v_mul_f16_e32 v2, v65, v24
	s_delay_alu instid0(VALU_DEP_4) | instskip(SKIP_2) | instid1(VALU_DEP_4)
	v_and_b32_e32 v15, 7, v14
	v_cmp_eq_u32_e32 vcc_lo, 0x40f, v12
	v_lshrrev_b32_e32 v12, 2, v14
	v_fmac_f16_e32 v2, v61, v10
	s_delay_alu instid0(VALU_DEP_4)
	v_cmp_eq_u32_e64 s0, 3, v15
	s_wait_alu 0xfffd
	v_cndmask_b32_e32 v22, v13, v22, vcc_lo
	v_cmp_lt_i32_e32 vcc_lo, 5, v15
	v_lshrrev_b32_e32 v15, 8, v7
	v_cvt_f32_f16_e32 v13, v2
	v_mul_f64_e32 v[2:3], s[8:9], v[8:9]
	v_mul_f16_e32 v10, v65, v10
	s_or_b32 vcc_lo, s0, vcc_lo
	v_lshlrev_b64_e32 v[0:1], 2, v[0:1]
	s_wait_alu 0xfffe
	v_add_co_ci_u32_e32 v14, vcc_lo, 0, v12, vcc_lo
	v_cmp_ne_u32_e32 vcc_lo, 0, v6
	v_cvt_f64_f32_e32 v[8:9], v13
	v_mad_co_u64_u32 v[12:13], null, s4, v59, 0
	v_lshrrev_b32_e32 v7, 16, v7
	s_wait_alu 0xfffd
	v_cndmask_b32_e64 v6, 0, 1, vcc_lo
	v_cmp_ne_u32_e32 vcc_lo, 0, v4
	s_delay_alu instid0(VALU_DEP_2)
	v_and_or_b32 v6, 0xffe, v15, v6
	v_sub_nc_u32_e32 v15, 0x3f1, v26
	s_wait_alu 0xfffd
	v_cndmask_b32_e64 v4, 0, 1, vcc_lo
	v_cmp_gt_i32_e32 vcc_lo, 31, v23
	v_or_b32_e32 v28, 0x1000, v6
	v_med3_i32 v15, v15, 0, 13
	s_delay_alu instid0(VALU_DEP_4)
	v_lshl_or_b32 v27, v4, 9, 0x7c00
	s_wait_alu 0xfffd
	v_cndmask_b32_e32 v14, 0x7c00, v14, vcc_lo
	v_cmp_eq_u32_e32 vcc_lo, 0x40f, v23
	v_mov_b32_e32 v4, v13
	v_lshrrev_b32_e32 v23, v15, v28
	s_wait_alu 0xfffd
	v_cndmask_b32_e32 v13, v14, v27, vcc_lo
	v_lshrrev_b32_e32 v14, 16, v5
	s_delay_alu instid0(VALU_DEP_3) | instskip(SKIP_2) | instid1(VALU_DEP_4)
	v_lshlrev_b32_e32 v15, v15, v23
	v_mad_co_u64_u32 v[4:5], null, s5, v59, v[4:5]
	v_and_or_b32 v5, 0x8000, v25, v22
	v_and_or_b32 v14, 0x8000, v14, v13
	s_delay_alu instid0(VALU_DEP_4)
	v_cmp_ne_u32_e32 vcc_lo, v15, v28
	v_and_or_b32 v2, 0x1ff, v3, v2
	v_add_nc_u32_e32 v25, 0xfffffc10, v26
	v_and_b32_e32 v5, 0xffff, v5
	v_mov_b32_e32 v13, v4
	s_wait_alu 0xfffd
	v_cndmask_b32_e64 v4, 0, 1, vcc_lo
	v_cmp_ne_u32_e32 vcc_lo, 0, v2
	v_bfe_u32 v15, v3, 20, 11
	v_lshl_or_b32 v22, v14, 16, v5
	v_lshrrev_b32_e32 v26, 16, v11
	v_or_b32_e32 v14, v23, v4
	v_mul_f64_e32 v[4:5], s[8:9], v[8:9]
	v_fma_f16 v8, v61, v24, -v10
	v_lshl_or_b32 v9, v25, 12, v6
	s_wait_alu 0xfffd
	v_cndmask_b32_e64 v2, 0, 1, vcc_lo
	v_lshrrev_b32_e32 v10, 8, v3
	v_cmp_gt_i32_e32 vcc_lo, 1, v25
	v_cvt_f32_f16_e32 v8, v8
	v_lshlrev_b64_e32 v[12:13], 2, v[12:13]
	s_delay_alu instid0(VALU_DEP_4)
	v_and_or_b32 v2, 0xffe, v10, v2
	s_wait_alu 0xfffd
	v_cndmask_b32_e32 v14, v9, v14, vcc_lo
	v_cvt_f64_f32_e32 v[8:9], v8
	v_sub_nc_u32_e32 v10, 0x3f1, v15
	v_add_co_u32 v0, vcc_lo, s2, v0
	s_delay_alu instid0(VALU_DEP_4) | instskip(SKIP_1) | instid1(VALU_DEP_4)
	v_and_b32_e32 v23, 7, v14
	v_or_b32_e32 v24, 0x1000, v2
	v_med3_i32 v10, v10, 0, 13
	s_wait_alu 0xfffd
	v_add_co_ci_u32_e32 v1, vcc_lo, s3, v1, vcc_lo
	v_cmp_lt_i32_e32 vcc_lo, 5, v23
	v_cmp_eq_u32_e64 s0, 3, v23
	v_lshrrev_b32_e32 v23, v10, v24
	v_lshrrev_b32_e32 v14, 2, v14
	v_add_co_u32 v12, s1, v0, v12
	s_delay_alu instid0(VALU_DEP_4) | instskip(NEXT) | instid1(VALU_DEP_3)
	s_or_b32 vcc_lo, s0, vcc_lo
	v_lshlrev_b32_e32 v10, v10, v23
	s_wait_alu 0xfffe
	v_add_co_ci_u32_e32 v27, vcc_lo, 0, v14, vcc_lo
	v_mul_f16_e32 v14, v62, v26
	v_add_co_ci_u32_e64 v13, s1, v1, v13, s1
	v_cmp_ne_u32_e32 vcc_lo, v10, v24
	v_add_nc_u32_e32 v24, 0xfffffc10, v15
	s_delay_alu instid0(VALU_DEP_4)
	v_fmac_f16_e32 v14, v58, v11
	v_mul_f16_e32 v11, v62, v11
	global_store_b32 v[12:13], v22, off
	s_wait_alu 0xfffd
	v_cndmask_b32_e64 v10, 0, 1, vcc_lo
	v_and_or_b32 v4, 0x1ff, v5, v4
	v_cmp_ne_u32_e32 vcc_lo, 0, v6
	v_cvt_f32_f16_e32 v14, v14
	v_lshrrev_b32_e32 v28, 8, v5
	v_or_b32_e32 v10, v23, v10
	v_lshl_or_b32 v23, v24, 12, v2
	s_wait_alu 0xfffd
	v_cndmask_b32_e64 v6, 0, 1, vcc_lo
	v_cmp_ne_u32_e32 vcc_lo, 0, v4
	v_bfe_u32 v29, v5, 20, 11
	v_cvt_f64_f32_e32 v[14:15], v14
	v_mul_f64_e32 v[8:9], s[8:9], v[8:9]
	v_lshl_or_b32 v6, v6, 9, 0x7c00
	s_wait_alu 0xfffd
	v_cndmask_b32_e64 v4, 0, 1, vcc_lo
	v_cmp_gt_i32_e32 vcc_lo, 1, v24
	v_fma_f16 v11, v58, v26, -v11
	s_mul_u64 s[2:3], s[4:5], 0x140
	s_delay_alu instid0(VALU_DEP_3)
	v_and_or_b32 v4, 0xffe, v28, v4
	s_wait_alu 0xfffd
	v_cndmask_b32_e32 v10, v23, v10, vcc_lo
	v_cmp_gt_i32_e32 vcc_lo, 31, v25
	v_sub_nc_u32_e32 v23, 0x3f1, v29
	v_or_b32_e32 v30, 0x1000, v4
	s_wait_alu 0xfffd
	v_dual_cndmask_b32 v27, 0x7c00, v27 :: v_dual_and_b32 v28, 7, v10
	v_cmp_eq_u32_e32 vcc_lo, 0x40f, v25
	v_med3_i32 v23, v23, 0, 13
	s_delay_alu instid0(VALU_DEP_3) | instskip(SKIP_2) | instid1(VALU_DEP_3)
	v_cmp_eq_u32_e64 s0, 3, v28
	s_wait_alu 0xfffd
	v_dual_cndmask_b32 v6, v27, v6 :: v_dual_add_nc_u32 v27, 0xfffffc10, v29
	v_lshrrev_b32_e32 v25, v23, v30
	v_cmp_lt_i32_e32 vcc_lo, 5, v28
	s_delay_alu instid0(VALU_DEP_3) | instskip(SKIP_1) | instid1(VALU_DEP_4)
	v_and_or_b32 v26, 0x8000, v7, v6
	v_lshrrev_b32_e32 v6, 2, v10
	v_lshlrev_b32_e32 v7, v23, v25
	s_or_b32 vcc_lo, s0, vcc_lo
	v_cvt_f32_f16_e32 v10, v11
	s_wait_alu 0xfffe
	v_add_co_ci_u32_e32 v11, vcc_lo, 0, v6, vcc_lo
	v_cmp_ne_u32_e32 vcc_lo, v7, v30
	s_delay_alu instid0(VALU_DEP_3) | instskip(SKIP_4) | instid1(VALU_DEP_3)
	v_cvt_f64_f32_e32 v[6:7], v10
	s_wait_alu 0xfffd
	v_cndmask_b32_e64 v23, 0, 1, vcc_lo
	v_cmp_ne_u32_e32 vcc_lo, 0, v2
	v_and_or_b32 v8, 0x1ff, v9, v8
	v_or_b32_e32 v23, v25, v23
	s_wait_alu 0xfffd
	v_cndmask_b32_e64 v2, 0, 1, vcc_lo
	v_cmp_gt_i32_e32 vcc_lo, 31, v24
	v_lshl_or_b32 v25, v27, 12, v4
	s_delay_alu instid0(VALU_DEP_3)
	v_lshl_or_b32 v2, v2, 9, 0x7c00
	s_wait_alu 0xfffd
	v_cndmask_b32_e32 v28, 0x7c00, v11, vcc_lo
	v_cmp_gt_i32_e32 vcc_lo, 1, v27
	v_mul_f64_e32 v[10:11], s[8:9], v[14:15]
	v_lshrrev_b32_e32 v15, 8, v9
	s_wait_alu 0xfffd
	v_cndmask_b32_e32 v14, v25, v23, vcc_lo
	v_cmp_ne_u32_e32 vcc_lo, 0, v8
	v_lshrrev_b32_e32 v25, 16, v3
	s_wait_alu 0xfffd
	v_cndmask_b32_e64 v8, 0, 1, vcc_lo
	v_cmp_eq_u32_e32 vcc_lo, 0x40f, v24
	v_bfe_u32 v24, v9, 20, 11
	v_lshrrev_b32_e32 v9, 16, v9
	s_delay_alu instid0(VALU_DEP_4)
	v_and_or_b32 v8, 0xffe, v15, v8
	s_wait_alu 0xfffd
	v_cndmask_b32_e32 v23, v28, v2, vcc_lo
	ds_load_2addr_b32 v[2:3], v21 offset0:64 offset1:144
	v_and_b32_e32 v28, 7, v14
	v_sub_nc_u32_e32 v15, 0x3f1, v24
	v_lshrrev_b32_e32 v14, 2, v14
	v_and_or_b32 v21, 0x8000, v25, v23
	v_or_b32_e32 v25, 0x1000, v8
	v_cmp_lt_i32_e32 vcc_lo, 5, v28
	v_cmp_eq_u32_e64 s0, 3, v28
	v_med3_i32 v15, v15, 0, 13
	v_and_b32_e32 v23, 0xffff, v26
	v_mul_f64_e32 v[6:7], s[8:9], v[6:7]
	v_add_nc_u32_e32 v24, 0xfffffc10, v24
	s_or_b32 vcc_lo, s0, vcc_lo
	v_lshrrev_b32_e32 v22, v15, v25
	s_wait_alu 0xfffe
	v_add_co_ci_u32_e32 v14, vcc_lo, 0, v14, vcc_lo
	v_cmp_gt_i32_e32 vcc_lo, 31, v27
	v_lshl_or_b32 v21, v21, 16, v23
	v_lshlrev_b32_e32 v15, v15, v22
	s_wait_dscnt 0x0
	v_lshrrev_b32_e32 v26, 16, v2
	s_wait_alu 0xfffd
	v_cndmask_b32_e32 v23, 0x7c00, v14, vcc_lo
	v_cmp_ne_u32_e32 vcc_lo, 0, v4
	v_and_or_b32 v10, 0x1ff, v11, v10
	v_bfe_u32 v28, v11, 20, 11
	s_wait_alu 0xfffd
	v_cndmask_b32_e64 v4, 0, 1, vcc_lo
	v_cmp_ne_u32_e32 vcc_lo, v15, v25
	v_mul_f16_e32 v15, v60, v26
	v_lshrrev_b32_e32 v25, 8, v11
	v_lshrrev_b32_e32 v11, 16, v11
	v_lshl_or_b32 v4, v4, 9, 0x7c00
	s_wait_alu 0xfffd
	v_cndmask_b32_e64 v14, 0, 1, vcc_lo
	v_fmac_f16_e32 v15, v56, v2
	v_cmp_ne_u32_e32 vcc_lo, 0, v10
	v_mul_f16_e32 v2, v60, v2
	s_delay_alu instid0(VALU_DEP_4)
	v_or_b32_e32 v14, v22, v14
	v_lshl_or_b32 v22, v24, 12, v8
	s_wait_alu 0xfffd
	v_cndmask_b32_e64 v10, 0, 1, vcc_lo
	v_cvt_f32_f16_e32 v15, v15
	v_cmp_gt_i32_e32 vcc_lo, 1, v24
	v_fma_f16 v2, v56, v26, -v2
	s_delay_alu instid0(VALU_DEP_4)
	v_and_or_b32 v10, 0xffe, v25, v10
	v_sub_nc_u32_e32 v25, 0x3f1, v28
	s_wait_alu 0xfffd
	v_cndmask_b32_e32 v22, v22, v14, vcc_lo
	v_cvt_f64_f32_e32 v[14:15], v15
	v_cmp_eq_u32_e32 vcc_lo, 0x40f, v27
	v_lshrrev_b32_e32 v27, 16, v5
	v_or_b32_e32 v30, 0x1000, v10
	v_and_b32_e32 v29, 7, v22
	v_med3_i32 v25, v25, 0, 13
	s_wait_alu 0xfffd
	v_cndmask_b32_e32 v23, v23, v4, vcc_lo
	v_add_co_u32 v4, vcc_lo, v12, s2
	s_wait_alu 0xfffd
	v_add_co_ci_u32_e32 v5, vcc_lo, s3, v13, vcc_lo
	v_cmp_lt_i32_e32 vcc_lo, 5, v29
	v_cmp_eq_u32_e64 s0, 3, v29
	v_and_or_b32 v23, 0x8000, v27, v23
	v_lshrrev_b32_e32 v27, v25, v30
	v_and_or_b32 v6, 0x1ff, v7, v6
	v_lshrrev_b32_e32 v12, 2, v22
	s_or_b32 vcc_lo, s0, vcc_lo
	v_lshrrev_b32_e32 v22, 8, v7
	v_cvt_f32_f16_e32 v2, v2
	v_cmp_ne_u32_e64 s1, 0, v6
	s_wait_alu 0xfffe
	v_add_co_ci_u32_e32 v26, vcc_lo, 0, v12, vcc_lo
	v_lshlrev_b32_e32 v13, v25, v27
	v_bfe_u32 v25, v7, 20, 11
	s_wait_alu 0xf1ff
	v_cndmask_b32_e64 v6, 0, 1, s1
	v_add_nc_u32_e32 v28, 0xfffffc10, v28
	global_store_b32 v[4:5], v21, off
	v_cmp_ne_u32_e32 vcc_lo, v13, v30
	v_cvt_f64_f32_e32 v[12:13], v2
	v_and_or_b32 v6, 0xffe, v22, v6
	v_sub_nc_u32_e32 v22, 0x3f1, v25
	v_add_nc_u32_e32 v25, 0xfffffc10, v25
	s_wait_alu 0xfffd
	v_cndmask_b32_e64 v29, 0, 1, vcc_lo
	v_cmp_ne_u32_e32 vcc_lo, 0, v8
	v_or_b32_e32 v30, 0x1000, v6
	v_med3_i32 v2, v22, 0, 13
	v_cmp_gt_i32_e64 s1, 1, v25
	v_mul_f64_e32 v[14:15], s[8:9], v[14:15]
	s_wait_alu 0xfffd
	v_cndmask_b32_e64 v8, 0, 1, vcc_lo
	v_cmp_gt_i32_e32 vcc_lo, 31, v24
	v_or_b32_e32 v22, v27, v29
	v_lshl_or_b32 v27, v28, 12, v10
	v_lshrrev_b32_e32 v29, v2, v30
	v_lshl_or_b32 v8, v8, 9, 0x7c00
	s_wait_alu 0xfffd
	v_cndmask_b32_e32 v26, 0x7c00, v26, vcc_lo
	v_cmp_gt_i32_e32 vcc_lo, 1, v28
	v_lshlrev_b32_e32 v2, v2, v29
	s_wait_alu 0xfffd
	v_cndmask_b32_e32 v22, v27, v22, vcc_lo
	v_cmp_eq_u32_e32 vcc_lo, 0x40f, v24
	s_delay_alu instid0(VALU_DEP_2) | instskip(SKIP_3) | instid1(VALU_DEP_3)
	v_and_b32_e32 v24, 7, v22
	s_wait_alu 0xfffd
	v_cndmask_b32_e32 v8, v26, v8, vcc_lo
	v_cmp_ne_u32_e32 vcc_lo, v2, v30
	v_cmp_eq_u32_e64 s0, 3, v24
	s_delay_alu instid0(VALU_DEP_3)
	v_and_or_b32 v26, 0x8000, v9, v8
	s_wait_alu 0xfffd
	v_cndmask_b32_e64 v2, 0, 1, vcc_lo
	v_cmp_lt_i32_e32 vcc_lo, 5, v24
	v_lshrrev_b32_e32 v9, 2, v22
	v_lshl_or_b32 v8, v25, 12, v6
	v_lshrrev_b32_e32 v22, 16, v3
	v_or_b32_e32 v2, v29, v2
	s_or_b32 vcc_lo, s0, vcc_lo
	s_wait_alu 0xfffe
	v_add_co_ci_u32_e32 v24, vcc_lo, 0, v9, vcc_lo
	s_delay_alu instid0(VALU_DEP_2)
	v_cndmask_b32_e64 v2, v8, v2, s1
	v_mul_f16_e32 v27, v57, v22
	v_cmp_ne_u32_e32 vcc_lo, 0, v10
	v_mul_f64_e32 v[8:9], s[8:9], v[12:13]
	v_and_or_b32 v12, 0x1ff, v15, v14
	v_and_b32_e32 v29, 7, v2
	v_fmac_f16_e32 v27, v54, v3
	s_wait_alu 0xfffd
	v_cndmask_b32_e64 v10, 0, 1, vcc_lo
	v_cmp_gt_i32_e32 vcc_lo, 31, v28
	v_lshrrev_b32_e32 v2, 2, v2
	v_cmp_eq_u32_e64 s0, 3, v29
	v_cvt_f32_f16_e32 v13, v27
	v_cmp_ne_u32_e64 s1, 0, v12
	s_wait_alu 0xfffd
	v_cndmask_b32_e32 v24, 0x7c00, v24, vcc_lo
	v_cmp_lt_i32_e32 vcc_lo, 5, v29
	v_lshrrev_b32_e32 v27, 8, v15
	v_cvt_f64_f32_e32 v[12:13], v13
	s_wait_alu 0xf1ff
	v_cndmask_b32_e64 v14, 0, 1, s1
	v_bfe_u32 v29, v15, 20, 11
	s_or_b32 vcc_lo, s0, vcc_lo
	v_lshl_or_b32 v10, v10, 9, 0x7c00
	s_wait_alu 0xfffe
	v_add_co_ci_u32_e32 v2, vcc_lo, 0, v2, vcc_lo
	v_cmp_ne_u32_e32 vcc_lo, 0, v6
	v_and_or_b32 v14, 0xffe, v27, v14
	v_sub_nc_u32_e32 v27, 0x3f1, v29
	v_mul_f16_e32 v3, v57, v3
	v_lshrrev_b32_e32 v15, 16, v15
	s_wait_alu 0xfffd
	v_cndmask_b32_e64 v6, 0, 1, vcc_lo
	v_cmp_gt_i32_e32 vcc_lo, 31, v25
	v_or_b32_e32 v30, 0x1000, v14
	v_med3_i32 v27, v27, 0, 13
	s_delay_alu instid0(VALU_DEP_4)
	v_lshl_or_b32 v6, v6, 9, 0x7c00
	s_wait_alu 0xfffd
	v_cndmask_b32_e32 v2, 0x7c00, v2, vcc_lo
	v_cmp_eq_u32_e32 vcc_lo, 0x40f, v28
	s_wait_alu 0xfffd
	v_dual_cndmask_b32 v10, v24, v10 :: v_dual_and_b32 v23, 0xffff, v23
	v_lshrrev_b32_e32 v24, v27, v30
	v_cmp_eq_u32_e32 vcc_lo, 0x40f, v25
	s_delay_alu instid0(VALU_DEP_3)
	v_lshl_or_b32 v21, v26, 16, v23
	v_add_nc_u32_e32 v25, 0xfffffc10, v29
	v_bfe_u32 v26, v9, 20, 11
	s_wait_alu 0xfffd
	v_cndmask_b32_e32 v2, v2, v6, vcc_lo
	v_lshrrev_b32_e32 v6, 16, v7
	v_and_or_b32 v7, 0x8000, v11, v10
	v_lshlrev_b32_e32 v10, v27, v24
	v_fma_f16 v11, v54, v22, -v3
	v_cmp_eq_u32_e64 s1, 0x40f, v25
	v_and_or_b32 v23, 0x8000, v6, v2
	v_and_or_b32 v2, 0x1ff, v9, v8
	v_cmp_ne_u32_e32 vcc_lo, v10, v30
	v_and_b32_e32 v8, 0xffff, v7
	v_lshrrev_b32_e32 v7, 8, v9
	v_cvt_f32_f16_e32 v11, v11
	s_wait_alu 0xfffd
	v_cndmask_b32_e64 v10, 0, 1, vcc_lo
	v_cmp_ne_u32_e32 vcc_lo, 0, v2
	v_mul_f64_e32 v[2:3], s[8:9], v[12:13]
	v_sub_nc_u32_e32 v12, 0x3f1, v26
	v_lshl_or_b32 v8, v23, 16, v8
	v_or_b32_e32 v13, v24, v10
	s_wait_alu 0xfffd
	v_cndmask_b32_e64 v6, 0, 1, vcc_lo
	v_cvt_f64_f32_e32 v[10:11], v11
	v_med3_i32 v27, v12, 0, 13
	v_add_co_u32 v4, vcc_lo, v4, s2
	s_delay_alu instid0(VALU_DEP_4)
	v_and_or_b32 v22, 0xffe, v7, v6
	ds_load_2addr_b32 v[6:7], v20 offset0:96 offset1:176
	s_wait_alu 0xfffd
	v_add_co_ci_u32_e32 v5, vcc_lo, s3, v5, vcc_lo
	v_lshl_or_b32 v20, v25, 12, v14
	v_or_b32_e32 v24, 0x1000, v22
	v_cmp_gt_i32_e32 vcc_lo, 1, v25
	s_delay_alu instid0(VALU_DEP_2)
	v_lshrrev_b32_e32 v23, v27, v24
	s_wait_alu 0xfffd
	v_cndmask_b32_e32 v20, v20, v13, vcc_lo
	v_add_co_u32 v12, vcc_lo, v4, s2
	s_wait_alu 0xfffd
	v_add_co_ci_u32_e32 v13, vcc_lo, s3, v5, vcc_lo
	v_lshlrev_b32_e32 v27, v27, v23
	v_and_b32_e32 v29, 7, v20
	s_clause 0x1
	global_store_b32 v[4:5], v21, off
	global_store_b32 v[12:13], v8, off
	v_lshrrev_b32_e32 v20, 2, v20
	v_add_nc_u32_e32 v8, 0xfffffc10, v26
	v_cmp_ne_u32_e64 s0, v27, v24
	s_wait_dscnt 0x0
	v_lshrrev_b32_e32 v28, 16, v6
	v_cmp_lt_i32_e32 vcc_lo, 5, v29
	s_wait_alu 0xf1ff
	v_cndmask_b32_e64 v5, 0, 1, s0
	v_cmp_eq_u32_e64 s0, 3, v29
	v_mul_f16_e32 v4, v55, v28
	v_and_or_b32 v2, 0x1ff, v3, v2
	v_bfe_u32 v24, v3, 20, 11
	v_or_b32_e32 v21, v23, v5
	s_or_b32 vcc_lo, s0, vcc_lo
	v_fmac_f16_e32 v4, v52, v6
	s_wait_alu 0xfffe
	v_add_co_ci_u32_e32 v20, vcc_lo, 0, v20, vcc_lo
	v_lshl_or_b32 v23, v8, 12, v22
	v_cmp_gt_i32_e32 vcc_lo, 1, v8
	v_cvt_f32_f16_e32 v4, v4
	v_mul_f64_e32 v[10:11], s[8:9], v[10:11]
	v_mul_f16_e32 v6, v55, v6
	s_wait_alu 0xfffd
	v_cndmask_b32_e32 v21, v23, v21, vcc_lo
	v_cmp_ne_u32_e32 vcc_lo, 0, v2
	v_cvt_f64_f32_e32 v[4:5], v4
	v_lshrrev_b32_e32 v23, 8, v3
	v_fma_f16 v6, v52, v28, -v6
	v_and_b32_e32 v26, 7, v21
	s_wait_alu 0xfffd
	v_cndmask_b32_e64 v2, 0, 1, vcc_lo
	v_cmp_ne_u32_e32 vcc_lo, 0, v14
	v_lshrrev_b32_e32 v21, 2, v21
	v_cvt_f32_f16_e32 v6, v6
	v_cmp_eq_u32_e64 s0, 3, v26
	v_and_or_b32 v2, 0xffe, v23, v2
	s_wait_alu 0xfffd
	v_cndmask_b32_e64 v14, 0, 1, vcc_lo
	v_cmp_gt_i32_e32 vcc_lo, 31, v25
	v_sub_nc_u32_e32 v23, 0x3f1, v24
	v_add_nc_u32_e32 v24, 0xfffffc10, v24
	v_or_b32_e32 v27, 0x1000, v2
	v_lshl_or_b32 v14, v14, 9, 0x7c00
	s_wait_alu 0xfffd
	v_cndmask_b32_e32 v20, 0x7c00, v20, vcc_lo
	v_cmp_lt_i32_e32 vcc_lo, 5, v26
	v_med3_i32 v23, v23, 0, 13
	s_delay_alu instid0(VALU_DEP_3) | instskip(SKIP_1) | instid1(VALU_DEP_2)
	v_cndmask_b32_e64 v14, v20, v14, s1
	s_or_b32 vcc_lo, s0, vcc_lo
	v_lshrrev_b32_e32 v20, v23, v27
	s_wait_alu 0xfffe
	v_add_co_ci_u32_e32 v21, vcc_lo, 0, v21, vcc_lo
	v_cmp_ne_u32_e32 vcc_lo, 0, v22
	v_and_or_b32 v14, 0x8000, v15, v14
	v_lshlrev_b32_e32 v23, v23, v20
	s_wait_alu 0xfffd
	v_cndmask_b32_e64 v22, 0, 1, vcc_lo
	v_cmp_gt_i32_e32 vcc_lo, 31, v8
	v_and_or_b32 v10, 0x1ff, v11, v10
	v_and_b32_e32 v14, 0xffff, v14
	s_delay_alu instid0(VALU_DEP_4)
	v_lshl_or_b32 v22, v22, 9, 0x7c00
	s_wait_alu 0xfffd
	v_cndmask_b32_e32 v21, 0x7c00, v21, vcc_lo
	v_cmp_ne_u32_e32 vcc_lo, v23, v27
	v_mul_f64_e32 v[4:5], s[8:9], v[4:5]
	s_wait_alu 0xfffd
	v_cndmask_b32_e64 v23, 0, 1, vcc_lo
	v_cmp_eq_u32_e32 vcc_lo, 0x40f, v8
	s_delay_alu instid0(VALU_DEP_2)
	v_or_b32_e32 v8, v20, v23
	s_wait_alu 0xfffd
	v_cndmask_b32_e32 v21, v21, v22, vcc_lo
	v_lshl_or_b32 v20, v24, 12, v2
	v_cmp_gt_i32_e32 vcc_lo, 1, v24
	v_lshrrev_b32_e32 v22, 16, v9
	v_bfe_u32 v23, v11, 20, 11
	s_wait_alu 0xfffd
	v_cndmask_b32_e32 v20, v20, v8, vcc_lo
	v_cvt_f64_f32_e32 v[8:9], v6
	v_cmp_ne_u32_e32 vcc_lo, 0, v10
	v_lshrrev_b32_e32 v10, 8, v11
	v_and_or_b32 v15, 0x8000, v22, v21
	v_and_b32_e32 v25, 7, v20
	v_lshrrev_b32_e32 v20, 2, v20
	s_wait_alu 0xfffd
	v_cndmask_b32_e64 v6, 0, 1, vcc_lo
	v_lshrrev_b32_e32 v11, 16, v11
	v_lshl_or_b32 v26, v15, 16, v14
	v_cmp_lt_i32_e32 vcc_lo, 5, v25
	v_cmp_eq_u32_e64 s0, 3, v25
	v_and_or_b32 v6, 0xffe, v10, v6
	v_sub_nc_u32_e32 v10, 0x3f1, v23
	v_lshrrev_b32_e32 v25, 16, v7
	s_delay_alu instid0(VALU_DEP_4) | instskip(NEXT) | instid1(VALU_DEP_3)
	s_or_b32 vcc_lo, s0, vcc_lo
	v_or_b32_e32 v21, 0x1000, v6
	s_delay_alu instid0(VALU_DEP_3)
	v_med3_i32 v10, v10, 0, 13
	s_wait_alu 0xfffe
	v_add_co_ci_u32_e32 v20, vcc_lo, 0, v20, vcc_lo
	v_cmp_gt_i32_e32 vcc_lo, 31, v24
	v_mul_f16_e32 v14, v53, v25
	v_lshrrev_b32_e32 v22, v10, v21
	v_and_or_b32 v4, 0x1ff, v5, v4
	v_bfe_u32 v27, v5, 20, 11
	s_wait_alu 0xfffd
	v_cndmask_b32_e32 v20, 0x7c00, v20, vcc_lo
	v_cmp_ne_u32_e32 vcc_lo, 0, v2
	v_lshlrev_b32_e32 v10, v10, v22
	v_fmac_f16_e32 v14, v50, v7
	v_mul_f16_e32 v7, v53, v7
	s_wait_alu 0xfffd
	v_cndmask_b32_e64 v2, 0, 1, vcc_lo
	v_cmp_ne_u32_e32 vcc_lo, v10, v21
	v_cvt_f32_f16_e32 v14, v14
	v_add_nc_u32_e32 v21, 0xfffffc10, v23
	v_lshrrev_b32_e32 v23, 8, v5
	v_lshl_or_b32 v2, v2, 9, 0x7c00
	s_wait_alu 0xfffd
	v_cndmask_b32_e64 v10, 0, 1, vcc_lo
	v_cmp_ne_u32_e32 vcc_lo, 0, v4
	v_mul_f64_e32 v[8:9], s[8:9], v[8:9]
	v_cvt_f64_f32_e32 v[14:15], v14
	v_fma_f16 v7, v50, v25, -v7
	v_or_b32_e32 v10, v22, v10
	s_wait_alu 0xfffd
	v_cndmask_b32_e64 v4, 0, 1, vcc_lo
	v_lshl_or_b32 v22, v21, 12, v6
	v_cmp_gt_i32_e32 vcc_lo, 1, v21
	v_lshrrev_b32_e32 v5, 16, v5
	s_delay_alu instid0(VALU_DEP_4)
	v_and_or_b32 v4, 0xffe, v23, v4
	v_sub_nc_u32_e32 v23, 0x3f1, v27
	s_wait_alu 0xfffd
	v_cndmask_b32_e32 v10, v22, v10, vcc_lo
	v_cmp_eq_u32_e32 vcc_lo, 0x40f, v24
	v_lshrrev_b32_e32 v24, 16, v3
	v_or_b32_e32 v22, 0x1000, v4
	v_med3_i32 v23, v23, 0, 13
	v_and_b32_e32 v28, 7, v10
	s_wait_alu 0xfffd
	v_cndmask_b32_e32 v20, v20, v2, vcc_lo
	v_add_co_u32 v2, vcc_lo, v12, s2
	v_lshrrev_b32_e32 v29, v23, v22
	s_wait_alu 0xfffd
	v_add_co_ci_u32_e32 v3, vcc_lo, s3, v13, vcc_lo
	v_cmp_lt_i32_e32 vcc_lo, 5, v28
	v_cmp_eq_u32_e64 s0, 3, v28
	v_lshlrev_b32_e32 v12, v23, v29
	v_lshrrev_b32_e32 v10, 2, v10
	v_and_or_b32 v20, 0x8000, v24, v20
	v_cvt_f32_f16_e32 v24, v7
	s_or_b32 vcc_lo, s0, vcc_lo
	v_cmp_ne_u32_e64 s1, v12, v22
	s_wait_alu 0xfffe
	v_add_co_ci_u32_e32 v10, vcc_lo, 0, v10, vcc_lo
	v_add_nc_u32_e32 v22, 0xfffffc10, v27
	v_cmp_ne_u32_e32 vcc_lo, 0, v6
	s_wait_alu 0xf1ff
	v_cndmask_b32_e64 v12, 0, 1, s1
	v_and_b32_e32 v20, 0xffff, v20
	global_store_b32 v[2:3], v26, off
	v_lshl_or_b32 v13, v22, 12, v4
	s_wait_alu 0xfffd
	v_cndmask_b32_e64 v23, 0, 1, vcc_lo
	v_or_b32_e32 v12, v29, v12
	v_and_or_b32 v8, 0x1ff, v9, v8
	v_cmp_gt_i32_e32 vcc_lo, 1, v22
	v_mul_f64_e32 v[6:7], s[8:9], v[14:15]
	v_lshl_or_b32 v23, v23, 9, 0x7c00
	v_lshrrev_b32_e32 v14, 8, v9
	s_wait_alu 0xfffd
	v_cndmask_b32_e32 v25, v13, v12, vcc_lo
	v_cmp_ne_u32_e32 vcc_lo, 0, v8
	v_cvt_f64_f32_e32 v[12:13], v24
	v_bfe_u32 v24, v9, 20, 11
	v_lshrrev_b32_e32 v9, 16, v9
	s_wait_alu 0xfffd
	v_cndmask_b32_e64 v8, 0, 1, vcc_lo
	v_cmp_gt_i32_e32 vcc_lo, 31, v21
	v_sub_nc_u32_e32 v28, 0x3f1, v24
	v_add_nc_u32_e32 v24, 0xfffffc10, v24
	s_delay_alu instid0(VALU_DEP_4)
	v_and_or_b32 v8, 0xffe, v14, v8
	s_wait_alu 0xfffd
	v_cndmask_b32_e32 v10, 0x7c00, v10, vcc_lo
	v_cmp_eq_u32_e32 vcc_lo, 0x40f, v21
	v_and_b32_e32 v27, 7, v25
	ds_load_2addr_b32 v[14:15], v19 offset0:128 offset1:208
	v_or_b32_e32 v19, 0x1000, v8
	v_med3_i32 v21, v28, 0, 13
	s_wait_alu 0xfffd
	v_cndmask_b32_e32 v10, v10, v23, vcc_lo
	v_cmp_lt_i32_e32 vcc_lo, 5, v27
	v_cmp_eq_u32_e64 s0, 3, v27
	v_lshrrev_b32_e32 v23, v21, v19
	s_delay_alu instid0(VALU_DEP_4) | instskip(SKIP_1) | instid1(VALU_DEP_4)
	v_and_or_b32 v10, 0x8000, v11, v10
	v_lshrrev_b32_e32 v11, 2, v25
	s_or_b32 vcc_lo, s0, vcc_lo
	s_delay_alu instid0(VALU_DEP_2) | instskip(SKIP_1) | instid1(VALU_DEP_2)
	v_lshl_or_b32 v20, v10, 16, v20
	s_wait_alu 0xfffe
	v_add_co_ci_u32_e32 v11, vcc_lo, 0, v11, vcc_lo
	v_cmp_gt_i32_e32 vcc_lo, 31, v22
	v_lshlrev_b32_e32 v10, v21, v23
	v_and_or_b32 v6, 0x1ff, v7, v6
	s_wait_dscnt 0x0
	v_lshrrev_b32_e32 v25, 16, v14
	s_wait_alu 0xfffd
	v_cndmask_b32_e32 v21, 0x7c00, v11, vcc_lo
	v_cmp_ne_u32_e32 vcc_lo, 0, v4
	s_delay_alu instid0(VALU_DEP_3)
	v_mul_f16_e32 v26, v51, v25
	s_wait_alu 0xfffd
	v_cndmask_b32_e64 v4, 0, 1, vcc_lo
	v_cmp_ne_u32_e32 vcc_lo, v10, v19
	v_mul_f64_e32 v[10:11], s[8:9], v[12:13]
	v_lshl_or_b32 v13, v24, 12, v8
	v_fmac_f16_e32 v26, v48, v14
	v_lshl_or_b32 v4, v4, 9, 0x7c00
	s_wait_alu 0xfffd
	v_cndmask_b32_e64 v19, 0, 1, vcc_lo
	v_cmp_ne_u32_e32 vcc_lo, 0, v6
	v_mul_f16_e32 v14, v51, v14
	v_cvt_f32_f16_e32 v26, v26
	s_delay_alu instid0(VALU_DEP_4)
	v_or_b32_e32 v12, v23, v19
	s_wait_alu 0xfffd
	v_cndmask_b32_e64 v6, 0, 1, vcc_lo
	v_cmp_gt_i32_e32 vcc_lo, 1, v24
	v_lshrrev_b32_e32 v19, 8, v7
	v_bfe_u32 v23, v7, 20, 11
	v_lshrrev_b32_e32 v7, 16, v7
	s_wait_alu 0xfffd
	v_cndmask_b32_e32 v27, v13, v12, vcc_lo
	v_and_or_b32 v6, 0xffe, v19, v6
	v_sub_nc_u32_e32 v19, 0x3f1, v23
	v_cmp_eq_u32_e32 vcc_lo, 0x40f, v22
	v_cvt_f64_f32_e32 v[12:13], v26
	v_and_b32_e32 v26, 7, v27
	v_lshrrev_b32_e32 v22, 2, v27
	v_med3_i32 v19, v19, 0, 13
	s_wait_alu 0xfffd
	v_cndmask_b32_e32 v4, v21, v4, vcc_lo
	v_or_b32_e32 v21, 0x1000, v6
	v_cmp_lt_i32_e32 vcc_lo, 5, v26
	v_cmp_eq_u32_e64 s0, 3, v26
	s_delay_alu instid0(VALU_DEP_3) | instskip(NEXT) | instid1(VALU_DEP_2)
	v_lshrrev_b32_e32 v26, v19, v21
	s_or_b32 vcc_lo, s0, vcc_lo
	s_wait_alu 0xfffe
	v_add_co_ci_u32_e32 v22, vcc_lo, 0, v22, vcc_lo
	s_delay_alu instid0(VALU_DEP_2)
	v_lshlrev_b32_e32 v19, v19, v26
	v_cmp_gt_i32_e32 vcc_lo, 31, v24
	v_and_or_b32 v27, 0x8000, v5, v4
	v_fma_f16 v4, v48, v25, -v14
	v_and_or_b32 v10, 0x1ff, v11, v10
	v_bfe_u32 v25, v11, 20, 11
	s_wait_alu 0xfffd
	v_cndmask_b32_e32 v14, 0x7c00, v22, vcc_lo
	v_cmp_ne_u32_e32 vcc_lo, v19, v21
	v_cvt_f32_f16_e32 v4, v4
	v_add_nc_u32_e32 v21, 0xfffffc10, v23
	v_lshrrev_b32_e32 v23, 8, v11
	v_lshrrev_b32_e32 v11, 16, v11
	s_wait_alu 0xfffd
	v_cndmask_b32_e64 v19, 0, 1, vcc_lo
	v_cmp_ne_u32_e32 vcc_lo, 0, v8
	v_cvt_f64_f32_e32 v[4:5], v4
	v_lshl_or_b32 v22, v21, 12, v6
	s_delay_alu instid0(VALU_DEP_4) | instskip(SKIP_4) | instid1(VALU_DEP_3)
	v_or_b32_e32 v19, v26, v19
	s_wait_alu 0xfffd
	v_cndmask_b32_e64 v8, 0, 1, vcc_lo
	v_cmp_ne_u32_e32 vcc_lo, 0, v10
	v_mul_f64_e32 v[12:13], s[8:9], v[12:13]
	v_lshl_or_b32 v8, v8, 9, 0x7c00
	s_wait_alu 0xfffd
	v_cndmask_b32_e64 v10, 0, 1, vcc_lo
	v_cmp_gt_i32_e32 vcc_lo, 1, v21
	s_delay_alu instid0(VALU_DEP_2)
	v_and_or_b32 v10, 0xffe, v23, v10
	s_wait_alu 0xfffd
	v_cndmask_b32_e32 v19, v22, v19, vcc_lo
	v_sub_nc_u32_e32 v22, 0x3f1, v25
	v_cmp_eq_u32_e32 vcc_lo, 0x40f, v24
	v_or_b32_e32 v23, 0x1000, v10
	s_delay_alu instid0(VALU_DEP_3)
	v_med3_i32 v22, v22, 0, 13
	s_wait_alu 0xfffd
	v_cndmask_b32_e32 v8, v14, v8, vcc_lo
	v_and_b32_e32 v14, 7, v19
	v_add_co_u32 v2, vcc_lo, v2, s2
	v_lshrrev_b32_e32 v24, v22, v23
	s_wait_alu 0xfffd
	v_add_co_ci_u32_e32 v3, vcc_lo, s3, v3, vcc_lo
	v_cmp_lt_i32_e32 vcc_lo, 5, v14
	v_cmp_eq_u32_e64 s0, 3, v14
	v_and_or_b32 v8, 0x8000, v9, v8
	v_and_b32_e32 v9, 0xffff, v27
	v_lshrrev_b32_e32 v14, 2, v19
	v_lshlrev_b32_e32 v19, v22, v24
	s_or_b32 vcc_lo, s0, vcc_lo
	global_store_b32 v[2:3], v20, off
	v_lshl_or_b32 v20, v8, 16, v9
	s_wait_alu 0xfffe
	v_add_co_ci_u32_e32 v8, vcc_lo, 0, v14, vcc_lo
	v_cmp_ne_u32_e32 vcc_lo, v19, v23
	v_mul_f64_e32 v[4:5], s[8:9], v[4:5]
	v_add_nc_u32_e32 v14, 0xfffffc10, v25
	v_lshrrev_b32_e32 v22, 16, v15
	s_wait_alu 0xfffd
	v_cndmask_b32_e64 v9, 0, 1, vcc_lo
	v_cmp_ne_u32_e32 vcc_lo, 0, v6
	v_lshl_or_b32 v19, v14, 12, v10
	v_and_or_b32 v12, 0x1ff, v13, v12
	v_bfe_u32 v23, v13, 20, 11
	v_or_b32_e32 v9, v24, v9
	s_wait_alu 0xfffd
	v_cndmask_b32_e64 v6, 0, 1, vcc_lo
	v_cmp_gt_i32_e32 vcc_lo, 31, v21
	s_delay_alu instid0(VALU_DEP_2)
	v_lshl_or_b32 v6, v6, 9, 0x7c00
	s_wait_alu 0xfffd
	v_cndmask_b32_e32 v8, 0x7c00, v8, vcc_lo
	v_cmp_gt_i32_e32 vcc_lo, 1, v14
	s_wait_alu 0xfffd
	v_cndmask_b32_e32 v9, v19, v9, vcc_lo
	v_cmp_eq_u32_e32 vcc_lo, 0x40f, v21
	v_mul_f16_e32 v19, v49, v22
	v_lshrrev_b32_e32 v21, 8, v13
	s_wait_alu 0xfffd
	v_cndmask_b32_e32 v6, v8, v6, vcc_lo
	v_cmp_ne_u32_e32 vcc_lo, 0, v12
	v_and_b32_e32 v8, 7, v9
	v_fmac_f16_e32 v19, v46, v15
	v_mul_f16_e32 v15, v49, v15
	v_and_or_b32 v24, 0x8000, v7, v6
	s_wait_alu 0xfffd
	v_cndmask_b32_e64 v12, 0, 1, vcc_lo
	v_cmp_lt_i32_e32 vcc_lo, 5, v8
	v_cmp_eq_u32_e64 s0, 3, v8
	v_lshrrev_b32_e32 v8, 2, v9
	v_cvt_f32_f16_e32 v6, v19
	v_and_or_b32 v12, 0xffe, v21, v12
	v_sub_nc_u32_e32 v19, 0x3f1, v23
	s_or_b32 vcc_lo, s0, vcc_lo
	v_and_or_b32 v4, 0x1ff, v5, v4
	s_wait_alu 0xfffe
	v_add_co_ci_u32_e32 v8, vcc_lo, 0, v8, vcc_lo
	v_or_b32_e32 v9, 0x1000, v12
	v_med3_i32 v19, v19, 0, 13
	v_cmp_ne_u32_e32 vcc_lo, 0, v10
	v_cvt_f64_f32_e32 v[6:7], v6
	v_lshrrev_b32_e32 v25, 8, v5
	v_bfe_u32 v26, v5, 20, 11
	v_lshrrev_b32_e32 v21, v19, v9
	s_wait_alu 0xfffd
	v_cndmask_b32_e64 v10, 0, 1, vcc_lo
	v_cmp_gt_i32_e32 vcc_lo, 31, v14
	v_fma_f16 v15, v46, v22, -v15
	v_and_b32_e32 v24, 0xffff, v24
	v_lshlrev_b32_e32 v19, v19, v21
	v_lshl_or_b32 v10, v10, 9, 0x7c00
	s_wait_alu 0xfffd
	v_cndmask_b32_e32 v8, 0x7c00, v8, vcc_lo
	v_cmp_ne_u32_e32 vcc_lo, 0, v4
	s_wait_alu 0xfffd
	v_cndmask_b32_e64 v4, 0, 1, vcc_lo
	v_cmp_ne_u32_e32 vcc_lo, v19, v9
	v_add_nc_u32_e32 v19, 0xfffffc10, v23
	v_sub_nc_u32_e32 v23, 0x3f1, v26
	s_delay_alu instid0(VALU_DEP_4)
	v_and_or_b32 v4, 0xffe, v25, v4
	s_wait_alu 0xfffd
	v_cndmask_b32_e64 v9, 0, 1, vcc_lo
	v_cmp_gt_i32_e32 vcc_lo, 1, v19
	v_med3_i32 v23, v23, 0, 13
	v_or_b32_e32 v25, 0x1000, v4
	s_delay_alu instid0(VALU_DEP_4) | instskip(SKIP_2) | instid1(VALU_DEP_1)
	v_or_b32_e32 v9, v21, v9
	v_lshl_or_b32 v21, v19, 12, v12
	s_wait_alu 0xfffd
	v_cndmask_b32_e32 v21, v21, v9, vcc_lo
	v_cmp_eq_u32_e32 vcc_lo, 0x40f, v14
	v_lshrrev_b32_e32 v14, v23, v25
	v_mul_f64_e32 v[6:7], s[8:9], v[6:7]
	s_wait_alu 0xfffd
	v_cndmask_b32_e32 v10, v8, v10, vcc_lo
	v_cvt_f32_f16_e32 v8, v15
	v_lshlrev_b32_e32 v22, v23, v14
	v_and_b32_e32 v15, 7, v21
	v_add_co_u32 v2, vcc_lo, v2, s2
	s_delay_alu instid0(VALU_DEP_4) | instskip(NEXT) | instid1(VALU_DEP_4)
	v_cvt_f64_f32_e32 v[8:9], v8
	v_cmp_ne_u32_e64 s0, v22, v25
	s_wait_alu 0xfffd
	v_add_co_ci_u32_e32 v3, vcc_lo, s3, v3, vcc_lo
	v_cmp_lt_i32_e32 vcc_lo, 5, v15
	v_add_nc_u32_e32 v25, 0xfffffc10, v26
	s_wait_alu 0xf1ff
	v_cndmask_b32_e64 v22, 0, 1, s0
	v_cmp_eq_u32_e64 s0, 3, v15
	v_lshrrev_b32_e32 v15, 2, v21
	v_and_or_b32 v23, 0x8000, v11, v10
	ds_load_2addr_b32 v[10:11], v18 offset0:32 offset1:112
	v_or_b32_e32 v14, v14, v22
	s_or_b32 vcc_lo, s0, vcc_lo
	v_lshl_or_b32 v18, v25, 12, v4
	s_wait_alu 0xfffe
	v_add_co_ci_u32_e32 v15, vcc_lo, 0, v15, vcc_lo
	v_cmp_ne_u32_e32 vcc_lo, 0, v12
	global_store_b32 v[2:3], v20, off
	v_lshl_or_b32 v20, v23, 16, v24
	v_lshrrev_b32_e32 v21, 16, v13
	s_wait_alu 0xfffd
	v_cndmask_b32_e64 v12, 0, 1, vcc_lo
	v_cmp_gt_i32_e32 vcc_lo, 1, v25
	s_delay_alu instid0(VALU_DEP_2)
	v_lshl_or_b32 v12, v12, 9, 0x7c00
	s_wait_alu 0xfffd
	v_cndmask_b32_e32 v14, v18, v14, vcc_lo
	v_cmp_gt_i32_e32 vcc_lo, 31, v19
	s_wait_dscnt 0x0
	v_lshrrev_b32_e32 v22, 16, v10
	v_and_or_b32 v6, 0x1ff, v7, v6
	s_wait_alu 0xfffd
	v_dual_cndmask_b32 v15, 0x7c00, v15 :: v_dual_and_b32 v18, 7, v14
	v_cmp_eq_u32_e32 vcc_lo, 0x40f, v19
	v_bfe_u32 v23, v7, 20, 11
	s_delay_alu instid0(VALU_DEP_3)
	v_cmp_eq_u32_e64 s0, 3, v18
	v_mul_f64_e32 v[8:9], s[8:9], v[8:9]
	s_wait_alu 0xfffd
	v_cndmask_b32_e32 v19, v15, v12, vcc_lo
	v_cmp_lt_i32_e32 vcc_lo, 5, v18
	v_lshrrev_b32_e32 v12, 2, v14
	v_lshrrev_b32_e32 v15, 8, v7
	v_sub_nc_u32_e32 v24, 0x3f1, v23
	v_mul_f16_e32 v14, v47, v22
	s_or_b32 vcc_lo, s0, vcc_lo
	v_lshrrev_b32_e32 v7, 16, v7
	s_wait_alu 0xfffe
	v_add_co_ci_u32_e32 v18, vcc_lo, 0, v12, vcc_lo
	v_cmp_ne_u32_e32 vcc_lo, 0, v6
	v_mad_co_u64_u32 v[12:13], null, s4, v43, 0
	v_fmac_f16_e32 v14, v44, v10
	s_wait_alu 0xfffd
	v_cndmask_b32_e64 v6, 0, 1, vcc_lo
	v_cmp_ne_u32_e32 vcc_lo, 0, v4
	s_delay_alu instid0(VALU_DEP_3) | instskip(NEXT) | instid1(VALU_DEP_3)
	v_cvt_f32_f16_e32 v14, v14
	v_and_or_b32 v6, 0xffe, v15, v6
	s_wait_alu 0xfffd
	v_cndmask_b32_e64 v4, 0, 1, vcc_lo
	s_delay_alu instid0(VALU_DEP_3) | instskip(NEXT) | instid1(VALU_DEP_3)
	v_cvt_f64_f32_e32 v[14:15], v14
	v_or_b32_e32 v27, 0x1000, v6
	s_delay_alu instid0(VALU_DEP_3) | instskip(SKIP_4) | instid1(VALU_DEP_4)
	v_lshl_or_b32 v26, v4, 9, 0x7c00
	v_mov_b32_e32 v4, v13
	v_cmp_gt_i32_e32 vcc_lo, 31, v25
	v_med3_i32 v13, v24, 0, 13
	v_lshrrev_b32_e32 v24, 16, v5
	v_mad_co_u64_u32 v[4:5], null, s5, v43, v[4:5]
	s_wait_alu 0xfffd
	v_cndmask_b32_e32 v18, 0x7c00, v18, vcc_lo
	v_cmp_eq_u32_e32 vcc_lo, 0x40f, v25
	v_lshrrev_b32_e32 v25, v13, v27
	v_mul_f16_e32 v5, v47, v10
	v_and_or_b32 v10, 0x8000, v21, v19
	s_wait_alu 0xfffd
	s_delay_alu instid0(VALU_DEP_3)
	v_dual_cndmask_b32 v18, v18, v26 :: v_dual_lshlrev_b32 v19, v13, v25
	v_add_co_u32 v2, vcc_lo, v2, s2
	v_fma_f16 v5, v44, v22, -v5
	s_wait_alu 0xfffd
	v_add_co_ci_u32_e32 v3, vcc_lo, s3, v3, vcc_lo
	v_mov_b32_e32 v13, v4
	v_and_or_b32 v4, 0x1ff, v9, v8
	v_cmp_ne_u32_e32 vcc_lo, v19, v27
	v_add_nc_u32_e32 v19, 0xfffffc10, v23
	v_cvt_f32_f16_e32 v5, v5
	v_lshrrev_b32_e32 v22, 8, v9
	v_bfe_u32 v23, v9, 20, 11
	s_wait_alu 0xfffd
	v_cndmask_b32_e64 v8, 0, 1, vcc_lo
	v_cmp_ne_u32_e32 vcc_lo, 0, v4
	v_cvt_f64_f32_e32 v[4:5], v5
	v_and_or_b32 v18, 0x8000, v24, v18
	v_lshl_or_b32 v24, v19, 12, v6
	v_or_b32_e32 v8, v25, v8
	s_wait_alu 0xfffd
	v_cndmask_b32_e64 v21, 0, 1, vcc_lo
	v_cmp_gt_i32_e32 vcc_lo, 1, v19
	v_lshlrev_b64_e32 v[12:13], 2, v[12:13]
	global_store_b32 v[2:3], v20, off
	v_and_b32_e32 v10, 0xffff, v10
	v_and_or_b32 v21, 0xffe, v22, v21
	v_sub_nc_u32_e32 v22, 0x3f1, v23
	s_wait_alu 0xfffd
	v_cndmask_b32_e32 v8, v24, v8, vcc_lo
	v_add_co_u32 v0, vcc_lo, v0, v12
	v_or_b32_e32 v24, 0x1000, v21
	v_med3_i32 v22, v22, 0, 13
	v_lshl_or_b32 v10, v18, 16, v10
	v_and_b32_e32 v18, 7, v8
	s_wait_alu 0xfffd
	v_add_co_ci_u32_e32 v1, vcc_lo, v1, v13, vcc_lo
	v_lshrrev_b32_e32 v20, v22, v24
	v_mul_f64_e32 v[14:15], s[8:9], v[14:15]
	v_cmp_lt_i32_e32 vcc_lo, 5, v18
	v_cmp_eq_u32_e64 s0, 3, v18
	global_store_b32 v[0:1], v10, off
	v_lshlrev_b32_e32 v12, v22, v20
	v_lshrrev_b32_e32 v0, 2, v8
	v_lshrrev_b32_e32 v13, 16, v11
	s_or_b32 vcc_lo, s0, vcc_lo
	v_add_nc_u32_e32 v10, 0xfffffc10, v23
	v_cmp_ne_u32_e64 s1, v12, v24
	s_wait_alu 0xfffe
	v_add_co_ci_u32_e32 v8, vcc_lo, 0, v0, vcc_lo
	v_cmp_ne_u32_e32 vcc_lo, 0, v6
	v_lshl_or_b32 v18, v10, 12, v21
	s_wait_alu 0xf1ff
	v_cndmask_b32_e64 v1, 0, 1, s1
	v_mad_co_u64_u32 v[2:3], null, 0x280, s4, v[2:3]
	s_wait_alu 0xfffd
	v_cndmask_b32_e64 v6, 0, 1, vcc_lo
	v_cmp_gt_i32_e32 vcc_lo, 31, v19
	v_or_b32_e32 v12, v20, v1
	v_mul_f64_e32 v[0:1], s[8:9], v[4:5]
	v_mul_f16_e32 v5, v45, v13
	v_lshl_or_b32 v6, v6, 9, 0x7c00
	s_wait_alu 0xfffd
	v_cndmask_b32_e32 v4, 0x7c00, v8, vcc_lo
	v_cmp_gt_i32_e32 vcc_lo, 1, v10
	v_fmac_f16_e32 v5, v42, v11
	v_mul_f16_e32 v11, v45, v11
	s_delay_alu instid0(VALU_DEP_1)
	v_fma_f16 v11, v42, v13, -v11
	v_bfe_u32 v13, v1, 20, 11
	s_wait_alu 0xfffd
	v_cndmask_b32_e32 v8, v18, v12, vcc_lo
	v_and_or_b32 v12, 0x1ff, v15, v14
	v_cmp_eq_u32_e32 vcc_lo, 0x40f, v19
	v_lshrrev_b32_e32 v18, 8, v15
	v_bfe_u32 v19, v15, 20, 11
	v_and_b32_e32 v14, 7, v8
	v_and_or_b32 v0, 0x1ff, v1, v0
	s_wait_alu 0xfffd
	v_cndmask_b32_e32 v6, v4, v6, vcc_lo
	v_cmp_ne_u32_e32 vcc_lo, 0, v12
	v_cvt_f32_f16_e32 v4, v5
	v_cmp_eq_u32_e64 s0, 3, v14
	s_wait_alu 0xfffd
	v_cndmask_b32_e64 v12, 0, 1, vcc_lo
	v_cmp_lt_i32_e32 vcc_lo, 5, v14
	v_cvt_f64_f32_e32 v[4:5], v4
	v_and_or_b32 v14, 0x8000, v7, v6
	v_lshrrev_b32_e32 v6, 2, v8
	v_and_or_b32 v12, 0xffe, v18, v12
	v_sub_nc_u32_e32 v18, 0x3f1, v19
	s_or_b32 vcc_lo, s0, vcc_lo
	v_and_b32_e32 v14, 0xffff, v14
	s_wait_alu 0xfffe
	v_add_co_ci_u32_e32 v6, vcc_lo, 0, v6, vcc_lo
	v_or_b32_e32 v7, 0x1000, v12
	v_med3_i32 v8, v18, 0, 13
	v_cmp_ne_u32_e32 vcc_lo, 0, v21
	s_delay_alu instid0(VALU_DEP_2) | instskip(SKIP_3) | instid1(VALU_DEP_3)
	v_lshrrev_b32_e32 v20, v8, v7
	s_wait_alu 0xfffd
	v_cndmask_b32_e64 v18, 0, 1, vcc_lo
	v_cmp_gt_i32_e32 vcc_lo, 31, v10
	v_lshlrev_b32_e32 v8, v8, v20
	s_delay_alu instid0(VALU_DEP_3) | instskip(SKIP_4) | instid1(VALU_DEP_2)
	v_lshl_or_b32 v18, v18, 9, 0x7c00
	s_wait_alu 0xfffd
	v_cndmask_b32_e32 v6, 0x7c00, v6, vcc_lo
	v_cmp_eq_u32_e32 vcc_lo, 0x40f, v10
	s_wait_alu 0xfffd
	v_cndmask_b32_e32 v10, v6, v18, vcc_lo
	v_cmp_ne_u32_e32 vcc_lo, v8, v7
	v_cvt_f32_f16_e32 v6, v11
	v_lshrrev_b32_e32 v11, 8, v1
	v_add_nc_u32_e32 v18, 0xfffffc10, v19
	s_wait_alu 0xfffd
	v_cndmask_b32_e64 v8, 0, 1, vcc_lo
	v_cmp_ne_u32_e32 vcc_lo, 0, v0
	v_cvt_f64_f32_e32 v[6:7], v6
	v_mul_f64_e32 v[4:5], s[8:9], v[4:5]
	s_delay_alu instid0(VALU_DEP_4) | instskip(SKIP_3) | instid1(VALU_DEP_2)
	v_or_b32_e32 v8, v20, v8
	s_wait_alu 0xfffd
	v_cndmask_b32_e64 v0, 0, 1, vcc_lo
	v_cmp_gt_i32_e32 vcc_lo, 1, v18
	v_and_or_b32 v19, 0xffe, v11, v0
	v_sub_nc_u32_e32 v0, 0x3f1, v13
	v_lshl_or_b32 v11, v18, 12, v12
	s_delay_alu instid0(VALU_DEP_3) | instskip(NEXT) | instid1(VALU_DEP_3)
	v_or_b32_e32 v20, 0x1000, v19
	v_med3_i32 v21, v0, 0, 13
	v_lshrrev_b32_e32 v0, 16, v9
	s_wait_alu 0xfffd
	v_cndmask_b32_e32 v22, v11, v8, vcc_lo
	ds_load_2addr_b32 v[8:9], v17 offset0:64 offset1:144
	v_lshrrev_b32_e32 v17, v21, v20
	v_and_or_b32 v23, 0x8000, v0, v10
	v_dual_mov_b32 v0, v3 :: v_dual_and_b32 v3, 7, v22
	s_delay_alu instid0(VALU_DEP_3) | instskip(NEXT) | instid1(VALU_DEP_2)
	v_lshlrev_b32_e32 v21, v21, v17
	v_mad_co_u64_u32 v[10:11], null, 0x280, s5, v[0:1]
	s_delay_alu instid0(VALU_DEP_3) | instskip(SKIP_4) | instid1(VALU_DEP_4)
	v_cmp_lt_i32_e32 vcc_lo, 5, v3
	v_cmp_eq_u32_e64 s0, 3, v3
	v_lshrrev_b32_e32 v0, 2, v22
	v_cmp_ne_u32_e64 s1, v21, v20
	v_add_nc_u32_e32 v11, 0xfffffc10, v13
	s_or_b32 vcc_lo, s0, vcc_lo
	s_wait_alu 0xfffe
	v_add_co_ci_u32_e32 v0, vcc_lo, 0, v0, vcc_lo
	v_cndmask_b32_e64 v3, 0, 1, s1
	v_cmp_ne_u32_e32 vcc_lo, 0, v12
	v_lshl_or_b32 v13, v11, 12, v19
	v_mul_f64_e32 v[6:7], s[8:9], v[6:7]
	v_and_or_b32 v4, 0x1ff, v5, v4
	v_or_b32_e32 v3, v17, v3
	s_wait_dscnt 0x0
	v_lshrrev_b32_e32 v17, 16, v8
	s_wait_alu 0xfffd
	v_cndmask_b32_e64 v12, 0, 1, vcc_lo
	v_cmp_gt_i32_e32 vcc_lo, 1, v11
	v_cmp_ne_u32_e64 s0, 0, v4
	v_bfe_u32 v21, v5, 20, 11
	s_delay_alu instid0(VALU_DEP_4) | instskip(SKIP_4) | instid1(VALU_DEP_3)
	v_lshl_or_b32 v12, v12, 9, 0x7c00
	s_wait_alu 0xfffd
	v_cndmask_b32_e32 v13, v13, v3, vcc_lo
	v_mul_f16_e32 v3, v41, v17
	v_cmp_gt_i32_e32 vcc_lo, 31, v18
	v_and_b32_e32 v20, 7, v13
	s_delay_alu instid0(VALU_DEP_3)
	v_fmac_f16_e32 v3, v40, v8
	s_wait_alu 0xfffd
	v_cndmask_b32_e32 v0, 0x7c00, v0, vcc_lo
	v_cmp_eq_u32_e32 vcc_lo, 0x40f, v18
	v_lshrrev_b32_e32 v18, 8, v5
	v_mul_f16_e32 v8, v41, v8
	v_cvt_f32_f16_e32 v3, v3
	v_lshrrev_b32_e32 v5, 16, v5
	s_wait_alu 0xfffd
	v_cndmask_b32_e32 v0, v0, v12, vcc_lo
	v_lshrrev_b32_e32 v12, 16, v15
	v_cmp_lt_i32_e32 vcc_lo, 5, v20
	s_wait_alu 0xf1ff
	v_cndmask_b32_e64 v15, 0, 1, s0
	v_cvt_f64_f32_e32 v[3:4], v3
	v_cmp_eq_u32_e64 s0, 3, v20
	v_and_or_b32 v20, 0x8000, v12, v0
	v_lshrrev_b32_e32 v0, 2, v13
	v_and_or_b32 v13, 0xffe, v18, v15
	v_sub_nc_u32_e32 v12, 0x3f1, v21
	s_or_b32 vcc_lo, s0, vcc_lo
	v_fma_f16 v8, v40, v17, -v8
	s_wait_alu 0xfffe
	v_add_co_ci_u32_e32 v0, vcc_lo, 0, v0, vcc_lo
	v_cmp_ne_u32_e32 vcc_lo, 0, v19
	v_or_b32_e32 v18, 0x1000, v13
	v_med3_i32 v12, v12, 0, 13
	v_and_or_b32 v6, 0x1ff, v7, v6
	v_cvt_f32_f16_e32 v8, v8
	s_wait_alu 0xfffd
	v_cndmask_b32_e64 v15, 0, 1, vcc_lo
	v_cmp_gt_i32_e32 vcc_lo, 31, v11
	v_lshrrev_b32_e32 v19, v12, v18
	v_lshrrev_b32_e32 v17, 8, v7
	v_bfe_u32 v22, v7, 20, 11
	v_lshl_or_b32 v15, v15, 9, 0x7c00
	s_wait_alu 0xfffd
	v_cndmask_b32_e32 v0, 0x7c00, v0, vcc_lo
	v_cmp_eq_u32_e32 vcc_lo, 0x40f, v11
	s_wait_alu 0xfffd
	s_delay_alu instid0(VALU_DEP_2)
	v_cndmask_b32_e32 v15, v0, v15, vcc_lo
	v_lshlrev_b32_e32 v0, v12, v19
	v_cmp_ne_u32_e32 vcc_lo, 0, v6
	v_cvt_f64_f32_e32 v[11:12], v8
	v_add_nc_u32_e32 v8, 0xfffffc10, v21
	s_wait_alu 0xfffd
	v_cndmask_b32_e64 v6, 0, 1, vcc_lo
	v_cmp_ne_u32_e32 vcc_lo, v0, v18
	v_lshrrev_b32_e32 v18, 16, v1
	v_lshl_or_b32 v21, v8, 12, v13
	s_delay_alu instid0(VALU_DEP_4) | instskip(SKIP_4) | instid1(VALU_DEP_3)
	v_and_or_b32 v6, 0xffe, v17, v6
	s_wait_alu 0xfffd
	v_cndmask_b32_e64 v0, 0, 1, vcc_lo
	v_sub_nc_u32_e32 v17, 0x3f1, v22
	v_cmp_gt_i32_e32 vcc_lo, 1, v8
	v_or_b32_e32 v19, v19, v0
	v_mul_f64_e32 v[0:1], s[8:9], v[3:4]
	v_or_b32_e32 v4, 0x1000, v6
	v_med3_i32 v17, v17, 0, 13
	v_mov_b32_e32 v3, v10
	s_wait_alu 0xfffd
	v_cndmask_b32_e32 v19, v21, v19, vcc_lo
	v_lshl_or_b32 v21, v23, 16, v14
	v_and_or_b32 v14, 0x8000, v18, v15
	v_lshrrev_b32_e32 v18, v17, v4
	v_and_b32_e32 v15, 0xffff, v20
	v_and_b32_e32 v20, 7, v19
	s_delay_alu instid0(VALU_DEP_3) | instskip(SKIP_1) | instid1(VALU_DEP_3)
	v_lshlrev_b32_e32 v10, v17, v18
	v_lshrrev_b32_e32 v17, 16, v9
	v_cmp_lt_i32_e32 vcc_lo, 5, v20
	v_cmp_eq_u32_e64 s0, 3, v20
	v_lshl_or_b32 v23, v14, 16, v15
	v_lshrrev_b32_e32 v14, 2, v19
	v_cmp_ne_u32_e64 s1, v10, v4
	v_mul_f16_e32 v15, v39, v17
	s_or_b32 vcc_lo, s0, vcc_lo
	v_add_nc_u32_e32 v19, 0xfffffc10, v22
	s_wait_alu 0xfffe
	v_add_co_ci_u32_e32 v14, vcc_lo, 0, v14, vcc_lo
	v_cndmask_b32_e64 v4, 0, 1, s1
	v_cmp_ne_u32_e32 vcc_lo, 0, v13
	v_fmac_f16_e32 v15, v38, v9
	v_mul_f64_e32 v[10:11], s[8:9], v[11:12]
	s_delay_alu instid0(VALU_DEP_4)
	v_or_b32_e32 v4, v18, v4
	v_lshl_or_b32 v18, v19, 12, v6
	s_wait_alu 0xfffd
	v_cndmask_b32_e64 v13, 0, 1, vcc_lo
	v_cmp_gt_i32_e32 vcc_lo, 1, v19
	v_cvt_f32_f16_e32 v12, v15
	s_delay_alu instid0(VALU_DEP_3)
	v_lshl_or_b32 v20, v13, 9, 0x7c00
	s_wait_alu 0xfffd
	v_cndmask_b32_e32 v4, v18, v4, vcc_lo
	v_cmp_gt_i32_e32 vcc_lo, 31, v8
	v_and_or_b32 v0, 0x1ff, v1, v0
	v_cvt_f64_f32_e32 v[12:13], v12
	s_delay_alu instid0(VALU_DEP_4)
	v_and_b32_e32 v22, 7, v4
	s_wait_alu 0xfffd
	v_cndmask_b32_e32 v18, 0x7c00, v14, vcc_lo
	v_add_co_u32 v14, vcc_lo, v2, s2
	s_wait_alu 0xfffd
	v_add_co_ci_u32_e32 v15, vcc_lo, s3, v3, vcc_lo
	v_cmp_eq_u32_e32 vcc_lo, 0x40f, v8
	v_cmp_ne_u32_e64 s0, 0, v0
	v_lshrrev_b32_e32 v4, 2, v4
	s_wait_alu 0xfffd
	v_cndmask_b32_e32 v8, v18, v20, vcc_lo
	v_cmp_lt_i32_e32 vcc_lo, 5, v22
	s_wait_alu 0xf1ff
	v_cndmask_b32_e64 v0, 0, 1, s0
	v_cmp_eq_u32_e64 s0, 3, v22
	v_lshrrev_b32_e32 v18, 8, v1
	v_bfe_u32 v20, v1, 20, 11
	v_and_or_b32 v24, 0x8000, v5, v8
	v_lshrrev_b32_e32 v1, 16, v1
	s_or_b32 vcc_lo, s0, vcc_lo
	v_and_or_b32 v0, 0xffe, v18, v0
	s_wait_alu 0xfffe
	v_add_co_ci_u32_e32 v4, vcc_lo, 0, v4, vcc_lo
	v_sub_nc_u32_e32 v18, 0x3f1, v20
	v_cmp_ne_u32_e32 vcc_lo, 0, v6
	v_or_b32_e32 v22, 0x1000, v0
	v_and_or_b32 v5, 0x1ff, v11, v10
	v_bfe_u32 v25, v11, 20, 11
	v_med3_i32 v18, v18, 0, 13
	s_wait_alu 0xfffd
	v_cndmask_b32_e64 v6, 0, 1, vcc_lo
	v_cmp_gt_i32_e32 vcc_lo, 31, v19
	s_delay_alu instid0(VALU_DEP_3) | instskip(NEXT) | instid1(VALU_DEP_3)
	v_lshrrev_b32_e32 v8, v18, v22
	v_lshl_or_b32 v6, v6, 9, 0x7c00
	s_wait_alu 0xfffd
	v_cndmask_b32_e32 v4, 0x7c00, v4, vcc_lo
	v_cmp_eq_u32_e32 vcc_lo, 0x40f, v19
	v_lshrrev_b32_e32 v19, 16, v7
	v_mul_f16_e32 v7, v39, v9
	s_wait_alu 0xfffd
	v_cndmask_b32_e32 v10, v4, v6, vcc_lo
	v_lshlrev_b32_e32 v6, v18, v8
	v_cmp_ne_u32_e32 vcc_lo, 0, v5
	v_lshrrev_b32_e32 v18, 8, v11
	v_mul_f64_e32 v[4:5], s[8:9], v[12:13]
	v_fma_f16 v7, v38, v17, -v7
	v_add_nc_u32_e32 v17, 0xfffffc10, v20
	s_wait_alu 0xfffd
	v_cndmask_b32_e64 v9, 0, 1, vcc_lo
	v_cmp_ne_u32_e32 vcc_lo, v6, v22
	v_sub_nc_u32_e32 v13, 0x3f1, v25
	v_and_or_b32 v10, 0x8000, v19, v10
	v_and_b32_e32 v19, 0xffff, v24
	v_and_or_b32 v18, 0xffe, v18, v9
	s_wait_alu 0xfffd
	v_cndmask_b32_e64 v12, 0, 1, vcc_lo
	v_cvt_f32_f16_e32 v9, v7
	ds_load_2addr_b32 v[6:7], v16 offset0:96 offset1:176
	v_lshl_or_b32 v16, v17, 12, v0
	v_or_b32_e32 v20, 0x1000, v18
	v_or_b32_e32 v12, v8, v12
	v_cvt_f64_f32_e32 v[8:9], v9
	v_med3_i32 v13, v13, 0, 13
	v_cmp_gt_i32_e32 vcc_lo, 1, v17
	v_lshl_or_b32 v19, v10, 16, v19
	global_store_b32 v[2:3], v21, off
	global_store_b32 v[14:15], v23, off
	v_cmp_eq_u32_e64 s1, 0x40f, v17
	v_lshrrev_b32_e32 v11, 16, v11
	s_wait_alu 0xfffd
	v_cndmask_b32_e32 v12, v16, v12, vcc_lo
	v_lshrrev_b32_e32 v16, v13, v20
	v_add_co_u32 v2, vcc_lo, v14, s2
	s_wait_alu 0xfffd
	v_add_co_ci_u32_e32 v3, vcc_lo, s3, v15, vcc_lo
	s_delay_alu instid0(VALU_DEP_3)
	v_lshlrev_b32_e32 v13, v13, v16
	v_and_b32_e32 v10, 7, v12
	v_add_nc_u32_e32 v15, 0xfffffc10, v25
	s_wait_dscnt 0x0
	v_lshrrev_b32_e32 v14, 16, v6
	v_cmp_ne_u32_e64 s0, v13, v20
	v_cmp_lt_i32_e32 vcc_lo, 5, v10
	s_delay_alu instid0(VALU_DEP_3) | instskip(SKIP_1) | instid1(VALU_DEP_3)
	v_mul_f16_e32 v20, v37, v14
	s_wait_alu 0xf1ff
	v_cndmask_b32_e64 v13, 0, 1, s0
	v_cmp_eq_u32_e64 s0, 3, v10
	v_lshrrev_b32_e32 v10, 2, v12
	v_fmac_f16_e32 v20, v36, v6
	v_and_or_b32 v4, 0x1ff, v5, v4
	v_or_b32_e32 v12, v16, v13
	s_or_b32 vcc_lo, s0, vcc_lo
	v_lshl_or_b32 v13, v15, 12, v18
	s_wait_alu 0xfffe
	v_add_co_ci_u32_e32 v10, vcc_lo, 0, v10, vcc_lo
	v_cmp_gt_i32_e32 vcc_lo, 1, v15
	v_cvt_f32_f16_e32 v16, v20
	v_bfe_u32 v21, v5, 20, 11
	v_mul_f16_e32 v6, v37, v6
	s_wait_alu 0xfffd
	v_cndmask_b32_e32 v20, v13, v12, vcc_lo
	v_cmp_ne_u32_e32 vcc_lo, 0, v4
	v_cvt_f64_f32_e32 v[12:13], v16
	v_mul_f64_e32 v[8:9], s[8:9], v[8:9]
	v_lshrrev_b32_e32 v16, 8, v5
	v_and_b32_e32 v22, 7, v20
	s_wait_alu 0xfffd
	v_cndmask_b32_e64 v4, 0, 1, vcc_lo
	v_cmp_ne_u32_e32 vcc_lo, 0, v0
	v_lshrrev_b32_e32 v20, 2, v20
	v_fma_f16 v6, v36, v14, -v6
	v_cmp_eq_u32_e64 s0, 3, v22
	v_and_or_b32 v4, 0xffe, v16, v4
	s_wait_alu 0xfffd
	v_cndmask_b32_e64 v0, 0, 1, vcc_lo
	v_cmp_gt_i32_e32 vcc_lo, 31, v17
	v_sub_nc_u32_e32 v16, 0x3f1, v21
	v_add_nc_u32_e32 v21, 0xfffffc10, v21
	v_or_b32_e32 v23, 0x1000, v4
	v_lshl_or_b32 v0, v0, 9, 0x7c00
	s_wait_alu 0xfffd
	v_cndmask_b32_e32 v10, 0x7c00, v10, vcc_lo
	v_cmp_lt_i32_e32 vcc_lo, 5, v22
	v_med3_i32 v16, v16, 0, 13
	v_cvt_f32_f16_e32 v6, v6
	s_delay_alu instid0(VALU_DEP_4) | instskip(SKIP_1) | instid1(VALU_DEP_3)
	v_cndmask_b32_e64 v0, v10, v0, s1
	s_or_b32 vcc_lo, s0, vcc_lo
	v_lshrrev_b32_e32 v10, v16, v23
	s_wait_alu 0xfffe
	v_add_co_ci_u32_e32 v17, vcc_lo, 0, v20, vcc_lo
	v_cmp_ne_u32_e32 vcc_lo, 0, v18
	v_and_or_b32 v20, 0x8000, v1, v0
	v_lshlrev_b32_e32 v16, v16, v10
	s_wait_alu 0xfffd
	v_cndmask_b32_e64 v18, 0, 1, vcc_lo
	v_cmp_gt_i32_e32 vcc_lo, 31, v15
	s_delay_alu instid0(VALU_DEP_2)
	v_lshl_or_b32 v18, v18, 9, 0x7c00
	s_wait_alu 0xfffd
	v_cndmask_b32_e32 v17, 0x7c00, v17, vcc_lo
	v_cmp_ne_u32_e32 vcc_lo, v16, v23
	v_mul_f64_e32 v[0:1], s[8:9], v[12:13]
	v_lshl_or_b32 v12, v21, 12, v4
	v_and_or_b32 v8, 0x1ff, v9, v8
	v_lshrrev_b32_e32 v13, 8, v9
	s_wait_alu 0xfffd
	v_cndmask_b32_e64 v16, 0, 1, vcc_lo
	v_cmp_eq_u32_e32 vcc_lo, 0x40f, v15
	v_bfe_u32 v14, v9, 20, 11
	s_delay_alu instid0(VALU_DEP_3) | instskip(SKIP_4) | instid1(VALU_DEP_3)
	v_or_b32_e32 v10, v10, v16
	s_wait_alu 0xfffd
	v_cndmask_b32_e32 v15, v17, v18, vcc_lo
	v_cmp_gt_i32_e32 vcc_lo, 1, v21
	v_lshrrev_b32_e32 v17, 16, v7
	v_and_or_b32 v15, 0x8000, v11, v15
	s_wait_alu 0xfffd
	v_cndmask_b32_e32 v12, v12, v10, vcc_lo
	v_cmp_ne_u32_e32 vcc_lo, 0, v8
	v_cvt_f64_f32_e32 v[10:11], v6
	v_sub_nc_u32_e32 v6, 0x3f1, v14
	v_add_nc_u32_e32 v14, 0xfffffc10, v14
	s_wait_alu 0xfffd
	v_cndmask_b32_e64 v8, 0, 1, vcc_lo
	s_delay_alu instid0(VALU_DEP_3) | instskip(NEXT) | instid1(VALU_DEP_2)
	v_med3_i32 v6, v6, 0, 13
	v_and_or_b32 v8, 0xffe, v13, v8
	v_and_b32_e32 v13, 0xffff, v20
	v_and_b32_e32 v16, 7, v12
	v_lshrrev_b32_e32 v12, 2, v12
	v_mul_f16_e32 v20, v35, v17
	v_or_b32_e32 v18, 0x1000, v8
	v_lshl_or_b32 v15, v15, 16, v13
	v_cmp_lt_i32_e32 vcc_lo, 5, v16
	v_cmp_eq_u32_e64 s0, 3, v16
	v_fmac_f16_e32 v20, v34, v7
	v_lshrrev_b32_e32 v16, v6, v18
	v_and_or_b32 v0, 0x1ff, v1, v0
	v_mul_f16_e32 v7, v35, v7
	s_or_b32 vcc_lo, s0, vcc_lo
	v_cvt_f32_f16_e32 v13, v20
	s_wait_alu 0xfffe
	v_add_co_ci_u32_e32 v12, vcc_lo, 0, v12, vcc_lo
	v_cmp_ne_u32_e32 vcc_lo, 0, v4
	v_lshlrev_b32_e32 v6, v6, v16
	v_bfe_u32 v22, v1, 20, 11
	v_fma_f16 v17, v34, v17, -v7
	v_lshl_or_b32 v23, v14, 12, v8
	s_wait_alu 0xfffd
	v_cndmask_b32_e64 v4, 0, 1, vcc_lo
	v_cmp_gt_i32_e32 vcc_lo, 31, v21
	s_delay_alu instid0(VALU_DEP_2)
	v_lshl_or_b32 v4, v4, 9, 0x7c00
	s_wait_alu 0xfffd
	v_cndmask_b32_e32 v20, 0x7c00, v12, vcc_lo
	v_cvt_f64_f32_e32 v[12:13], v13
	v_cmp_ne_u32_e32 vcc_lo, v6, v18
	v_lshrrev_b32_e32 v18, 8, v1
	v_lshrrev_b32_e32 v1, 16, v1
	s_wait_alu 0xfffd
	v_cndmask_b32_e64 v6, 0, 1, vcc_lo
	v_cmp_ne_u32_e32 vcc_lo, 0, v0
	s_delay_alu instid0(VALU_DEP_2)
	v_or_b32_e32 v16, v16, v6
	s_wait_alu 0xfffd
	v_cndmask_b32_e64 v0, 0, 1, vcc_lo
	v_cmp_gt_i32_e32 vcc_lo, 1, v14
	v_mul_f64_e32 v[6:7], s[8:9], v[10:11]
	v_sub_nc_u32_e32 v10, 0x3f1, v22
	v_cvt_f32_f16_e32 v11, v17
	v_and_or_b32 v0, 0xffe, v18, v0
	s_wait_alu 0xfffd
	v_cndmask_b32_e32 v16, v23, v16, vcc_lo
	v_cmp_eq_u32_e32 vcc_lo, 0x40f, v21
	v_med3_i32 v18, v10, 0, 13
	v_cvt_f64_f32_e32 v[10:11], v11
	v_or_b32_e32 v17, 0x1000, v0
	v_and_b32_e32 v23, 7, v16
	s_wait_alu 0xfffd
	v_cndmask_b32_e32 v20, v20, v4, vcc_lo
	v_add_co_u32 v4, vcc_lo, v2, s2
	v_lshrrev_b32_e32 v24, v18, v17
	v_lshrrev_b32_e32 v21, 16, v5
	s_wait_alu 0xfffd
	v_add_co_ci_u32_e32 v5, vcc_lo, s3, v3, vcc_lo
	v_cmp_lt_i32_e32 vcc_lo, 5, v23
	v_cmp_eq_u32_e64 s0, 3, v23
	v_lshrrev_b32_e32 v16, 2, v16
	v_lshlrev_b32_e32 v18, v18, v24
	v_and_or_b32 v20, 0x8000, v21, v20
	s_delay_alu instid0(VALU_DEP_4)
	s_or_b32 vcc_lo, s0, vcc_lo
	v_mul_f64_e32 v[12:13], s[8:9], v[12:13]
	s_wait_alu 0xfffe
	v_add_co_ci_u32_e32 v16, vcc_lo, 0, v16, vcc_lo
	v_cmp_ne_u32_e64 s1, v18, v17
	v_cmp_ne_u32_e32 vcc_lo, 0, v8
	v_add_nc_u32_e32 v18, 0xfffffc10, v22
	s_wait_alu 0xf1ff
	s_delay_alu instid0(VALU_DEP_3)
	v_cndmask_b32_e64 v17, 0, 1, s1
	s_wait_alu 0xfffd
	v_cndmask_b32_e64 v8, 0, 1, vcc_lo
	v_cmp_gt_i32_e32 vcc_lo, 31, v14
	v_lshl_or_b32 v21, v18, 12, v0
	v_or_b32_e32 v17, v24, v17
	s_delay_alu instid0(VALU_DEP_4)
	v_lshl_or_b32 v8, v8, 9, 0x7c00
	s_wait_alu 0xfffd
	v_cndmask_b32_e32 v16, 0x7c00, v16, vcc_lo
	v_cmp_gt_i32_e32 vcc_lo, 1, v18
	v_and_or_b32 v6, 0x1ff, v7, v6
	v_lshrrev_b32_e32 v22, 8, v7
	s_wait_alu 0xfffd
	v_cndmask_b32_e32 v17, v21, v17, vcc_lo
	v_cmp_eq_u32_e32 vcc_lo, 0x40f, v14
	s_wait_alu 0xfffd
	s_delay_alu instid0(VALU_DEP_2)
	v_dual_cndmask_b32 v14, v16, v8 :: v_dual_and_b32 v21, 7, v17
	v_lshrrev_b32_e32 v16, 16, v9
	v_cmp_ne_u32_e32 vcc_lo, 0, v6
	v_mul_f64_e32 v[8:9], s[8:9], v[10:11]
	v_bfe_u32 v10, v7, 20, 11
	v_cmp_eq_u32_e64 s0, 3, v21
	v_and_or_b32 v11, 0x8000, v16, v14
	v_and_b32_e32 v14, 0xffff, v20
	s_wait_alu 0xfffd
	v_cndmask_b32_e64 v6, 0, 1, vcc_lo
	v_cmp_lt_i32_e32 vcc_lo, 5, v21
	v_sub_nc_u32_e32 v16, 0x3f1, v10
	v_and_or_b32 v12, 0x1ff, v13, v12
	v_lshl_or_b32 v11, v11, 16, v14
	v_lshrrev_b32_e32 v14, 2, v17
	v_and_or_b32 v6, 0xffe, v22, v6
	s_or_b32 vcc_lo, s0, vcc_lo
	v_med3_i32 v16, v16, 0, 13
	v_lshrrev_b32_e32 v21, 8, v13
	s_wait_alu 0xfffe
	v_add_co_ci_u32_e32 v14, vcc_lo, 0, v14, vcc_lo
	v_or_b32_e32 v17, 0x1000, v6
	v_cmp_ne_u32_e32 vcc_lo, 0, v0
	v_bfe_u32 v22, v13, 20, 11
	v_add_nc_u32_e32 v10, 0xfffffc10, v10
	v_lshrrev_b32_e32 v7, 16, v7
	v_lshrrev_b32_e32 v20, v16, v17
	s_wait_alu 0xfffd
	v_cndmask_b32_e64 v0, 0, 1, vcc_lo
	v_cmp_gt_i32_e32 vcc_lo, 31, v18
	s_delay_alu instid0(VALU_DEP_3) | instskip(NEXT) | instid1(VALU_DEP_3)
	v_lshlrev_b32_e32 v16, v16, v20
	v_lshl_or_b32 v0, v0, 9, 0x7c00
	s_wait_alu 0xfffd
	v_cndmask_b32_e32 v14, 0x7c00, v14, vcc_lo
	v_cmp_ne_u32_e32 vcc_lo, 0, v12
	s_wait_alu 0xfffd
	v_cndmask_b32_e64 v12, 0, 1, vcc_lo
	v_cmp_ne_u32_e32 vcc_lo, v16, v17
	v_sub_nc_u32_e32 v17, 0x3f1, v22
	v_and_or_b32 v8, 0x1ff, v9, v8
	s_delay_alu instid0(VALU_DEP_4)
	v_and_or_b32 v12, 0xffe, v21, v12
	s_wait_alu 0xfffd
	v_cndmask_b32_e64 v16, 0, 1, vcc_lo
	v_cmp_eq_u32_e32 vcc_lo, 0x40f, v18
	v_med3_i32 v17, v17, 0, 13
	v_bfe_u32 v21, v9, 20, 11
	v_or_b32_e32 v18, 0x1000, v12
	s_wait_alu 0xfffd
	v_cndmask_b32_e32 v0, v14, v0, vcc_lo
	v_or_b32_e32 v14, v20, v16
	v_lshl_or_b32 v16, v10, 12, v6
	v_cmp_gt_i32_e32 vcc_lo, 1, v10
	v_lshrrev_b32_e32 v20, 8, v9
	v_and_or_b32 v0, 0x8000, v1, v0
	v_lshrrev_b32_e32 v9, 16, v9
	s_wait_alu 0xfffd
	v_cndmask_b32_e32 v14, v16, v14, vcc_lo
	v_lshrrev_b32_e32 v16, v17, v18
	v_cmp_ne_u32_e32 vcc_lo, 0, v8
	s_delay_alu instid0(VALU_DEP_3) | instskip(NEXT) | instid1(VALU_DEP_3)
	v_and_b32_e32 v23, 7, v14
	v_lshlrev_b32_e32 v17, v17, v16
	s_wait_alu 0xfffd
	v_cndmask_b32_e64 v8, 0, 1, vcc_lo
	v_lshrrev_b32_e32 v14, 2, v14
	v_cmp_lt_i32_e32 vcc_lo, 5, v23
	v_cmp_ne_u32_e64 s0, v17, v18
	s_delay_alu instid0(VALU_DEP_4)
	v_and_or_b32 v1, 0xffe, v20, v8
	v_sub_nc_u32_e32 v8, 0x3f1, v21
	v_add_nc_u32_e32 v20, 0xfffffc10, v22
	s_wait_alu 0xf1ff
	v_cndmask_b32_e64 v17, 0, 1, s0
	v_cmp_eq_u32_e64 s0, 3, v23
	v_or_b32_e32 v18, 0x1000, v1
	v_med3_i32 v8, v8, 0, 13
	v_lshl_or_b32 v22, v20, 12, v12
	v_or_b32_e32 v16, v16, v17
	s_or_b32 vcc_lo, s0, vcc_lo
	s_wait_alu 0xfffe
	v_add_co_ci_u32_e32 v14, vcc_lo, 0, v14, vcc_lo
	v_lshrrev_b32_e32 v17, v8, v18
	v_cmp_gt_i32_e32 vcc_lo, 1, v20
	s_delay_alu instid0(VALU_DEP_2)
	v_lshlrev_b32_e32 v8, v8, v17
	s_wait_alu 0xfffd
	v_cndmask_b32_e32 v16, v22, v16, vcc_lo
	v_cmp_ne_u32_e32 vcc_lo, 0, v6
	s_wait_alu 0xfffd
	v_cndmask_b32_e64 v6, 0, 1, vcc_lo
	v_cmp_ne_u32_e32 vcc_lo, v8, v18
	v_add_nc_u32_e32 v18, 0xfffffc10, v21
	v_and_b32_e32 v21, 7, v16
	s_delay_alu instid0(VALU_DEP_4)
	v_lshl_or_b32 v6, v6, 9, 0x7c00
	s_wait_alu 0xfffd
	v_cndmask_b32_e64 v8, 0, 1, vcc_lo
	v_cmp_gt_i32_e32 vcc_lo, 31, v10
	v_cmp_gt_i32_e64 s1, 1, v18
	v_cmp_eq_u32_e64 s0, 3, v21
	s_delay_alu instid0(VALU_DEP_4)
	v_or_b32_e32 v8, v17, v8
	v_lshl_or_b32 v17, v18, 12, v1
	s_wait_alu 0xfffd
	v_cndmask_b32_e32 v14, 0x7c00, v14, vcc_lo
	v_cmp_lt_i32_e32 vcc_lo, 5, v21
	s_wait_alu 0xf1ff
	v_cndmask_b32_e64 v8, v17, v8, s1
	v_cmp_eq_u32_e64 s1, 0x40f, v10
	v_lshrrev_b32_e32 v10, 2, v16
	s_or_b32 vcc_lo, s0, vcc_lo
	s_delay_alu instid0(VALU_DEP_2) | instskip(SKIP_1) | instid1(VALU_DEP_2)
	v_cndmask_b32_e64 v6, v14, v6, s1
	s_wait_alu 0xfffe
	v_add_co_ci_u32_e32 v10, vcc_lo, 0, v10, vcc_lo
	v_and_b32_e32 v14, 7, v8
	v_cmp_ne_u32_e32 vcc_lo, 0, v12
	v_lshrrev_b32_e32 v8, 2, v8
	v_cmp_gt_i32_e64 s1, 31, v20
	v_and_or_b32 v6, 0x8000, v7, v6
	v_and_b32_e32 v7, 0xffff, v0
	s_wait_alu 0xfffd
	v_cndmask_b32_e64 v12, 0, 1, vcc_lo
	v_cmp_lt_i32_e32 vcc_lo, 5, v14
	v_cmp_eq_u32_e64 s0, 3, v14
	s_wait_alu 0xf1ff
	v_cndmask_b32_e64 v10, 0x7c00, v10, s1
	v_lshl_or_b32 v12, v12, 9, 0x7c00
	s_delay_alu instid0(VALU_DEP_3)
	s_or_b32 vcc_lo, s0, vcc_lo
	s_wait_alu 0xfffe
	v_add_co_ci_u32_e32 v8, vcc_lo, 0, v8, vcc_lo
	v_cmp_ne_u32_e32 vcc_lo, 0, v1
	s_wait_alu 0xfffd
	v_cndmask_b32_e64 v1, 0, 1, vcc_lo
	v_cmp_eq_u32_e32 vcc_lo, 0x40f, v20
	s_delay_alu instid0(VALU_DEP_2)
	v_lshl_or_b32 v1, v1, 9, 0x7c00
	s_wait_alu 0xfffd
	v_cndmask_b32_e32 v10, v10, v12, vcc_lo
	v_cmp_gt_i32_e32 vcc_lo, 31, v18
	v_lshrrev_b32_e32 v12, 16, v13
	s_wait_alu 0xfffd
	v_cndmask_b32_e32 v8, 0x7c00, v8, vcc_lo
	v_cmp_eq_u32_e32 vcc_lo, 0x40f, v18
	s_delay_alu instid0(VALU_DEP_3)
	v_and_or_b32 v10, 0x8000, v12, v10
	v_lshl_or_b32 v12, v6, 16, v7
	s_wait_alu 0xfffd
	v_cndmask_b32_e32 v8, v8, v1, vcc_lo
	v_add_co_u32 v0, vcc_lo, v4, s2
	s_wait_alu 0xfffd
	v_add_co_ci_u32_e32 v1, vcc_lo, s3, v5, vcc_lo
	s_delay_alu instid0(VALU_DEP_3) | instskip(SKIP_4) | instid1(VALU_DEP_3)
	v_and_or_b32 v8, 0x8000, v9, v8
	v_and_b32_e32 v9, 0xffff, v10
	v_add_co_u32 v6, vcc_lo, v0, s2
	s_wait_alu 0xfffd
	v_add_co_ci_u32_e32 v7, vcc_lo, s3, v1, vcc_lo
	v_lshl_or_b32 v10, v8, 16, v9
	s_delay_alu instid0(VALU_DEP_3) | instskip(SKIP_1) | instid1(VALU_DEP_3)
	v_add_co_u32 v8, vcc_lo, v6, s2
	s_wait_alu 0xfffd
	v_add_co_ci_u32_e32 v9, vcc_lo, s3, v7, vcc_lo
	global_store_b32 v[2:3], v19, off
	global_store_b32 v[4:5], v15, off
	;; [unrolled: 1-line block ×5, first 2 shown]
.LBB0_10:
	s_nop 0
	s_sendmsg sendmsg(MSG_DEALLOC_VGPRS)
	s_endpgm
	.section	.rodata,"a",@progbits
	.p2align	6, 0x0
	.amdhsa_kernel bluestein_single_back_len1280_dim1_half_op_CI_CI
		.amdhsa_group_segment_fixed_size 5120
		.amdhsa_private_segment_fixed_size 0
		.amdhsa_kernarg_size 104
		.amdhsa_user_sgpr_count 2
		.amdhsa_user_sgpr_dispatch_ptr 0
		.amdhsa_user_sgpr_queue_ptr 0
		.amdhsa_user_sgpr_kernarg_segment_ptr 1
		.amdhsa_user_sgpr_dispatch_id 0
		.amdhsa_user_sgpr_private_segment_size 0
		.amdhsa_wavefront_size32 1
		.amdhsa_uses_dynamic_stack 0
		.amdhsa_enable_private_segment 0
		.amdhsa_system_sgpr_workgroup_id_x 1
		.amdhsa_system_sgpr_workgroup_id_y 0
		.amdhsa_system_sgpr_workgroup_id_z 0
		.amdhsa_system_sgpr_workgroup_info 0
		.amdhsa_system_vgpr_workitem_id 0
		.amdhsa_next_free_vgpr 170
		.amdhsa_next_free_sgpr 20
		.amdhsa_reserve_vcc 1
		.amdhsa_float_round_mode_32 0
		.amdhsa_float_round_mode_16_64 0
		.amdhsa_float_denorm_mode_32 3
		.amdhsa_float_denorm_mode_16_64 3
		.amdhsa_fp16_overflow 0
		.amdhsa_workgroup_processor_mode 1
		.amdhsa_memory_ordered 1
		.amdhsa_forward_progress 0
		.amdhsa_round_robin_scheduling 0
		.amdhsa_exception_fp_ieee_invalid_op 0
		.amdhsa_exception_fp_denorm_src 0
		.amdhsa_exception_fp_ieee_div_zero 0
		.amdhsa_exception_fp_ieee_overflow 0
		.amdhsa_exception_fp_ieee_underflow 0
		.amdhsa_exception_fp_ieee_inexact 0
		.amdhsa_exception_int_div_zero 0
	.end_amdhsa_kernel
	.text
.Lfunc_end0:
	.size	bluestein_single_back_len1280_dim1_half_op_CI_CI, .Lfunc_end0-bluestein_single_back_len1280_dim1_half_op_CI_CI
                                        ; -- End function
	.section	.AMDGPU.csdata,"",@progbits
; Kernel info:
; codeLenInByte = 24716
; NumSgprs: 22
; NumVgprs: 170
; ScratchSize: 0
; MemoryBound: 0
; FloatMode: 240
; IeeeMode: 1
; LDSByteSize: 5120 bytes/workgroup (compile time only)
; SGPRBlocks: 2
; VGPRBlocks: 21
; NumSGPRsForWavesPerEU: 22
; NumVGPRsForWavesPerEU: 170
; Occupancy: 8
; WaveLimiterHint : 1
; COMPUTE_PGM_RSRC2:SCRATCH_EN: 0
; COMPUTE_PGM_RSRC2:USER_SGPR: 2
; COMPUTE_PGM_RSRC2:TRAP_HANDLER: 0
; COMPUTE_PGM_RSRC2:TGID_X_EN: 1
; COMPUTE_PGM_RSRC2:TGID_Y_EN: 0
; COMPUTE_PGM_RSRC2:TGID_Z_EN: 0
; COMPUTE_PGM_RSRC2:TIDIG_COMP_CNT: 0
	.text
	.p2alignl 7, 3214868480
	.fill 96, 4, 3214868480
	.type	__hip_cuid_8ff1fd8265d8808f,@object ; @__hip_cuid_8ff1fd8265d8808f
	.section	.bss,"aw",@nobits
	.globl	__hip_cuid_8ff1fd8265d8808f
__hip_cuid_8ff1fd8265d8808f:
	.byte	0                               ; 0x0
	.size	__hip_cuid_8ff1fd8265d8808f, 1

	.ident	"AMD clang version 19.0.0git (https://github.com/RadeonOpenCompute/llvm-project roc-6.4.0 25133 c7fe45cf4b819c5991fe208aaa96edf142730f1d)"
	.section	".note.GNU-stack","",@progbits
	.addrsig
	.addrsig_sym __hip_cuid_8ff1fd8265d8808f
	.amdgpu_metadata
---
amdhsa.kernels:
  - .args:
      - .actual_access:  read_only
        .address_space:  global
        .offset:         0
        .size:           8
        .value_kind:     global_buffer
      - .actual_access:  read_only
        .address_space:  global
        .offset:         8
        .size:           8
        .value_kind:     global_buffer
      - .actual_access:  read_only
        .address_space:  global
        .offset:         16
        .size:           8
        .value_kind:     global_buffer
      - .actual_access:  read_only
        .address_space:  global
        .offset:         24
        .size:           8
        .value_kind:     global_buffer
      - .actual_access:  read_only
        .address_space:  global
        .offset:         32
        .size:           8
        .value_kind:     global_buffer
      - .offset:         40
        .size:           8
        .value_kind:     by_value
      - .address_space:  global
        .offset:         48
        .size:           8
        .value_kind:     global_buffer
      - .address_space:  global
        .offset:         56
        .size:           8
        .value_kind:     global_buffer
      - .address_space:  global
        .offset:         64
        .size:           8
        .value_kind:     global_buffer
      - .address_space:  global
        .offset:         72
        .size:           8
        .value_kind:     global_buffer
      - .offset:         80
        .size:           4
        .value_kind:     by_value
      - .address_space:  global
        .offset:         88
        .size:           8
        .value_kind:     global_buffer
      - .address_space:  global
        .offset:         96
        .size:           8
        .value_kind:     global_buffer
    .group_segment_fixed_size: 5120
    .kernarg_segment_align: 8
    .kernarg_segment_size: 104
    .language:       OpenCL C
    .language_version:
      - 2
      - 0
    .max_flat_workgroup_size: 80
    .name:           bluestein_single_back_len1280_dim1_half_op_CI_CI
    .private_segment_fixed_size: 0
    .sgpr_count:     22
    .sgpr_spill_count: 0
    .symbol:         bluestein_single_back_len1280_dim1_half_op_CI_CI.kd
    .uniform_work_group_size: 1
    .uses_dynamic_stack: false
    .vgpr_count:     170
    .vgpr_spill_count: 0
    .wavefront_size: 32
    .workgroup_processor_mode: 1
amdhsa.target:   amdgcn-amd-amdhsa--gfx1201
amdhsa.version:
  - 1
  - 2
...

	.end_amdgpu_metadata
